;; amdgpu-corpus repo=ROCm/rocFFT kind=compiled arch=gfx1201 opt=O3
	.text
	.amdgcn_target "amdgcn-amd-amdhsa--gfx1201"
	.amdhsa_code_object_version 6
	.protected	bluestein_single_fwd_len85_dim1_dp_op_CI_CI ; -- Begin function bluestein_single_fwd_len85_dim1_dp_op_CI_CI
	.globl	bluestein_single_fwd_len85_dim1_dp_op_CI_CI
	.p2align	8
	.type	bluestein_single_fwd_len85_dim1_dp_op_CI_CI,@function
bluestein_single_fwd_len85_dim1_dp_op_CI_CI: ; @bluestein_single_fwd_len85_dim1_dp_op_CI_CI
; %bb.0:
	s_load_b128 s[8:11], s[0:1], 0x28
	v_mul_u32_u24_e32 v1, 0xf10, v0
	s_mov_b32 s2, exec_lo
	s_delay_alu instid0(VALU_DEP_1) | instskip(NEXT) | instid1(VALU_DEP_1)
	v_lshrrev_b32_e32 v1, 16, v1
	v_mad_co_u64_u32 v[3:4], null, ttmp9, 15, v[1:2]
	v_mov_b32_e32 v4, 0
	s_wait_kmcnt 0x0
	s_delay_alu instid0(VALU_DEP_1)
	v_cmpx_gt_u64_e64 s[8:9], v[3:4]
	s_cbranch_execz .LBB0_15
; %bb.1:
	v_mul_hi_u32 v2, 0x88888889, v3
	v_mul_lo_u16 v1, v1, 17
	s_clause 0x1
	s_load_b64 s[8:9], s[0:1], 0x0
	s_load_b64 s[12:13], s[0:1], 0x38
	s_delay_alu instid0(VALU_DEP_1) | instskip(NEXT) | instid1(VALU_DEP_3)
	v_sub_nc_u16 v0, v0, v1
	v_lshrrev_b32_e32 v2, 3, v2
	s_delay_alu instid0(VALU_DEP_2) | instskip(SKIP_1) | instid1(VALU_DEP_3)
	v_and_b32_e32 v177, 0xffff, v0
	v_mov_b32_e32 v1, v3
	v_mul_lo_u32 v2, v2, 15
	v_cmp_gt_u16_e32 vcc_lo, 5, v0
	s_delay_alu instid0(VALU_DEP_4) | instskip(SKIP_4) | instid1(VALU_DEP_1)
	v_lshlrev_b32_e32 v116, 4, v177
	v_or_b32_e32 v0, 40, v177
	v_or_b32_e32 v255, 0x50, v177
	scratch_store_b64 off, v[1:2], off offset:8 ; 8-byte Folded Spill
	v_sub_nc_u32_e32 v1, v3, v2
	v_mul_u32_u24_e32 v1, 0x55, v1
	s_clause 0x1
	scratch_store_b32 off, v0, off offset:20
	scratch_store_b32 off, v1, off
	v_lshlrev_b32_e32 v0, 4, v1
	scratch_store_b32 off, v0, off offset:4 ; 4-byte Folded Spill
	s_and_saveexec_b32 s3, vcc_lo
	s_cbranch_execz .LBB0_3
; %bb.2:
	scratch_load_b64 v[0:1], off, off offset:8 ; 8-byte Folded Reload
	s_load_b64 s[4:5], s[0:1], 0x18
	s_wait_kmcnt 0x0
	s_load_b128 s[4:7], s[4:5], 0x0
	s_wait_kmcnt 0x0
	v_mad_co_u64_u32 v[40:41], null, s4, v177, 0
	v_mad_co_u64_u32 v[56:57], null, s4, v255, 0
	s_wait_loadcnt 0x0
	s_delay_alu instid0(VALU_DEP_2) | instskip(NEXT) | instid1(VALU_DEP_1)
	v_dual_mov_b32 v1, v41 :: v_dual_mov_b32 v2, v0
	v_mad_co_u64_u32 v[24:25], null, s6, v2, 0
	s_delay_alu instid0(VALU_DEP_2) | instskip(NEXT) | instid1(VALU_DEP_2)
	v_mad_co_u64_u32 v[26:27], null, s5, v177, v[1:2]
	v_mov_b32_e32 v0, v25
	s_delay_alu instid0(VALU_DEP_1)
	v_mad_co_u64_u32 v[8:9], null, s7, v2, v[0:1]
	s_mul_u64 s[6:7], s[4:5], 0x50
	s_clause 0x1
	global_load_b128 v[0:3], v116, s[8:9]
	global_load_b128 v[4:7], v116, s[8:9] offset:80
	v_mov_b32_e32 v25, v8
	s_clause 0x3
	global_load_b128 v[8:11], v116, s[8:9] offset:160
	global_load_b128 v[12:15], v116, s[8:9] offset:240
	;; [unrolled: 1-line block ×4, first 2 shown]
	v_lshlrev_b64_e32 v[42:43], 4, v[24:25]
	s_delay_alu instid0(VALU_DEP_1) | instskip(SKIP_1) | instid1(VALU_DEP_3)
	v_add_co_u32 v62, s2, s10, v42
	v_or_b32_e32 v42, 40, v177
	v_add_co_ci_u32_e64 v63, s2, s11, v43, s2
	s_delay_alu instid0(VALU_DEP_2)
	v_mad_co_u64_u32 v[48:49], null, s4, v42, 0
	v_mov_b32_e32 v41, v26
	s_clause 0x3
	global_load_b128 v[24:27], v116, s[8:9] offset:480
	global_load_b128 v[28:31], v116, s[8:9] offset:560
	;; [unrolled: 1-line block ×4, first 2 shown]
	v_lshlrev_b64_e32 v[40:41], 4, v[40:41]
	s_delay_alu instid0(VALU_DEP_1) | instskip(SKIP_2) | instid1(VALU_DEP_3)
	v_add_co_u32 v68, s2, v62, v40
	v_mov_b32_e32 v40, v49
	s_wait_alu 0xf1ff
	v_add_co_ci_u32_e64 v69, s2, v63, v41, s2
	s_wait_alu 0xfffe
	v_add_co_u32 v72, s2, v68, s6
	s_wait_alu 0xf1ff
	s_delay_alu instid0(VALU_DEP_2) | instskip(NEXT) | instid1(VALU_DEP_2)
	v_add_co_ci_u32_e64 v73, s2, s7, v69, s2
	v_add_co_u32 v76, s2, v72, s6
	s_wait_alu 0xf1ff
	s_delay_alu instid0(VALU_DEP_2) | instskip(NEXT) | instid1(VALU_DEP_2)
	v_add_co_ci_u32_e64 v77, s2, s7, v73, s2
	;; [unrolled: 4-line block ×6, first 2 shown]
	v_add_co_u32 v96, s2, v92, s6
	s_wait_alu 0xf1ff
	s_delay_alu instid0(VALU_DEP_2) | instskip(NEXT) | instid1(VALU_DEP_1)
	v_add_co_ci_u32_e64 v97, s2, s7, v93, s2
	v_mad_co_u64_u32 v[100:101], null, 0xa0, s4, v[96:97]
	s_delay_alu instid0(VALU_DEP_1) | instskip(NEXT) | instid1(VALU_DEP_1)
	v_dual_mov_b32 v41, v57 :: v_dual_mov_b32 v64, v101
	v_mad_co_u64_u32 v[42:43], null, s5, v42, v[40:41]
	s_delay_alu instid0(VALU_DEP_1)
	v_mad_co_u64_u32 v[50:51], null, s5, v255, v[41:42]
	v_mov_b32_e32 v49, v42
	s_clause 0x1
	global_load_b128 v[40:43], v116, s[8:9] offset:800
	global_load_b128 v[44:47], v116, s[8:9] offset:880
	v_lshlrev_b64_e32 v[58:59], 4, v[48:49]
	v_mov_b32_e32 v57, v50
	s_clause 0x1
	global_load_b128 v[48:51], v116, s[8:9] offset:960
	global_load_b128 v[52:55], v116, s[8:9] offset:1040
	v_lshlrev_b64_e32 v[56:57], 4, v[56:57]
	v_add_co_u32 v60, s2, v62, v58
	s_wait_alu 0xf1ff
	v_add_co_ci_u32_e64 v61, s2, v63, v59, s2
	s_delay_alu instid0(VALU_DEP_3)
	v_add_co_u32 v65, s2, v62, v56
	s_wait_alu 0xf1ff
	v_add_co_ci_u32_e64 v66, s2, v63, v57, s2
	global_load_b128 v[56:59], v116, s[8:9] offset:1280
	global_load_b128 v[60:63], v[60:61], off
	v_mad_co_u64_u32 v[94:95], null, 0xa0, s5, v[64:65]
	s_clause 0x5
	global_load_b128 v[64:67], v[65:66], off
	global_load_b128 v[68:71], v[68:69], off
	;; [unrolled: 1-line block ×8, first 2 shown]
	v_add_co_u32 v104, s2, v100, s6
	v_mov_b32_e32 v101, v94
	global_load_b128 v[92:95], v[92:93], off
	s_wait_alu 0xf1ff
	v_add_co_ci_u32_e64 v105, s2, s7, v101, s2
	v_add_co_u32 v108, s2, v104, s6
	global_load_b128 v[100:103], v[100:101], off
	s_wait_alu 0xf1ff
	v_add_co_ci_u32_e64 v109, s2, s7, v105, s2
	v_add_co_u32 v112, s2, v108, s6
	;; [unrolled: 4-line block ×5, first 2 shown]
	s_wait_alu 0xf1ff
	s_delay_alu instid0(VALU_DEP_2)
	v_add_co_ci_u32_e64 v134, s2, s7, v122, s2
	global_load_b128 v[117:120], v[117:118], off
	global_load_b128 v[121:124], v[121:122], off
	s_clause 0x1
	global_load_b128 v[125:128], v116, s[8:9] offset:1120
	global_load_b128 v[129:132], v116, s[8:9] offset:1200
	global_load_b128 v[133:136], v[133:134], off
	s_wait_loadcnt 0x10
	v_mul_f64_e32 v[137:138], v[70:71], v[2:3]
	v_mul_f64_e32 v[2:3], v[68:69], v[2:3]
	;; [unrolled: 1-line block ×4, first 2 shown]
	s_wait_loadcnt 0xf
	v_mul_f64_e32 v[143:144], v[74:75], v[6:7]
	v_mul_f64_e32 v[145:146], v[72:73], v[6:7]
	s_wait_loadcnt 0xa
	v_mul_f64_e32 v[157:158], v[98:99], v[30:31]
	v_mul_f64_e32 v[159:160], v[96:97], v[30:31]
	;; [unrolled: 1-line block ×10, first 2 shown]
	s_wait_loadcnt 0x9
	v_mul_f64_e32 v[155:156], v[94:95], v[26:27]
	v_mul_f64_e32 v[26:27], v[92:93], v[26:27]
	;; [unrolled: 1-line block ×4, first 2 shown]
	s_wait_loadcnt 0x8
	v_mul_f64_e32 v[161:162], v[102:103], v[38:39]
	v_mul_f64_e32 v[38:39], v[100:101], v[38:39]
	s_wait_loadcnt 0x7
	v_mul_f64_e32 v[163:164], v[106:107], v[42:43]
	v_mul_f64_e32 v[42:43], v[104:105], v[42:43]
	;; [unrolled: 3-line block ×4, first 2 shown]
	v_fma_f64 v[68:69], v[68:69], v[0:1], v[137:138]
	v_fma_f64 v[70:71], v[70:71], v[0:1], -v[2:3]
	v_fma_f64 v[0:1], v[60:61], v[32:33], v[139:140]
	v_fma_f64 v[2:3], v[62:63], v[32:33], -v[34:35]
	;; [unrolled: 2-line block ×3, first 2 shown]
	scratch_load_b32 v5, off, off offset:4  ; 4-byte Folded Reload
	s_wait_loadcnt 0x5
	v_mul_f64_e32 v[169:170], v[119:120], v[54:55]
	v_mul_f64_e32 v[54:55], v[117:118], v[54:55]
	s_wait_loadcnt 0x3
	v_mul_f64_e32 v[171:172], v[123:124], v[127:128]
	v_mul_f64_e32 v[127:128], v[121:122], v[127:128]
	;; [unrolled: 3-line block ×3, first 2 shown]
	v_fma_f64 v[58:59], v[76:77], v[8:9], v[147:148]
	v_fma_f64 v[60:61], v[78:79], v[8:9], -v[10:11]
	v_fma_f64 v[10:11], v[80:81], v[12:13], v[149:150]
	v_fma_f64 v[12:13], v[82:83], v[12:13], -v[14:15]
	;; [unrolled: 2-line block ×8, first 2 shown]
	v_fma_f64 v[6:7], v[64:65], v[56:57], v[141:142]
	v_fma_f64 v[42:43], v[108:109], v[44:45], v[165:166]
	v_fma_f64 v[44:45], v[110:111], v[44:45], -v[46:47]
	v_fma_f64 v[8:9], v[66:67], v[56:57], -v[175:176]
	v_fma_f64 v[46:47], v[112:113], v[48:49], v[167:168]
	v_fma_f64 v[48:49], v[114:115], v[48:49], -v[50:51]
	v_fma_f64 v[50:51], v[117:118], v[52:53], v[169:170]
	;; [unrolled: 2-line block ×4, first 2 shown]
	v_fma_f64 v[74:75], v[135:136], v[129:130], -v[131:132]
	s_wait_loadcnt 0x0
	v_lshl_add_u32 v4, v177, 4, v5
	v_add_nc_u32_e32 v5, v5, v116
	ds_store_b128 v4, v[68:71]
	ds_store_b128 v5, v[30:33] offset:80
	ds_store_b128 v5, v[58:61] offset:160
	;; [unrolled: 1-line block ×16, first 2 shown]
.LBB0_3:
	s_or_b32 exec_lo, exec_lo, s3
	scratch_store_b32 off, v177, off offset:16 ; 4-byte Folded Spill
	s_clause 0x1
	s_load_b64 s[2:3], s[0:1], 0x20
	s_load_b64 s[4:5], s[0:1], 0x8
	global_wb scope:SCOPE_SE
	s_wait_storecnt_dscnt 0x0
	s_wait_kmcnt 0x0
	s_barrier_signal -1
	s_barrier_wait -1
	global_inv scope:SCOPE_SE
                                        ; implicit-def: $vgpr110_vgpr111
                                        ; implicit-def: $vgpr106_vgpr107
                                        ; implicit-def: $vgpr102_vgpr103
                                        ; implicit-def: $vgpr98_vgpr99
                                        ; implicit-def: $vgpr94_vgpr95
                                        ; implicit-def: $vgpr86_vgpr87
                                        ; implicit-def: $vgpr82_vgpr83
                                        ; implicit-def: $vgpr74_vgpr75
                                        ; implicit-def: $vgpr22_vgpr23
                                        ; implicit-def: $vgpr112_vgpr113
                                        ; implicit-def: $vgpr88_vgpr89
                                        ; implicit-def: $vgpr76_vgpr77
                                        ; implicit-def: $vgpr68_vgpr69
                                        ; implicit-def: $vgpr64_vgpr65
                                        ; implicit-def: $vgpr32_vgpr33
                                        ; implicit-def: $vgpr24_vgpr25
                                        ; implicit-def: $vgpr28_vgpr29
	s_and_saveexec_b32 s0, vcc_lo
	s_cbranch_execz .LBB0_5
; %bb.4:
	scratch_load_b32 v0, off, off           ; 4-byte Folded Reload
	s_wait_loadcnt 0x0
	v_lshl_add_u32 v0, v0, 4, v116
	ds_load_b128 v[20:23], v0
	ds_load_b128 v[72:75], v0 offset:80
	ds_load_b128 v[80:83], v0 offset:160
	;; [unrolled: 1-line block ×16, first 2 shown]
.LBB0_5:
	s_wait_alu 0xfffe
	s_or_b32 exec_lo, exec_lo, s0
	s_wait_dscnt 0x0
	v_add_f64_e64 v[56:57], v[74:75], -v[30:31]
	v_add_f64_e64 v[58:59], v[82:83], -v[26:27]
	s_mov_b32 s24, 0x5d8e7cdc
	s_mov_b32 s26, 0x2a9d6da3
	;; [unrolled: 1-line block ×4, first 2 shown]
	v_add_f64_e32 v[143:144], v[72:73], v[28:29]
	v_add_f64_e64 v[62:63], v[80:81], -v[24:25]
	s_mov_b32 s0, 0x370991
	s_mov_b32 s1, 0x3fedd6d0
	v_add_f64_e32 v[119:120], v[80:81], v[24:25]
	s_mov_b32 s6, 0x75d4884
	s_mov_b32 s7, 0x3fe7a5f6
	v_add_f64_e64 v[60:61], v[72:73], -v[28:29]
	v_add_f64_e32 v[147:148], v[74:75], v[30:31]
	v_add_f64_e32 v[123:124], v[82:83], v[26:27]
	v_add_f64_e64 v[161:162], v[86:87], -v[34:35]
	s_mov_b32 s36, 0x7c9e640b
	s_mov_b32 s37, 0xbfeca52d
	v_add_f64_e32 v[127:128], v[84:85], v[32:33]
	s_mov_b32 s10, 0x2b2883cd
	s_mov_b32 s34, 0xeb564b22
	;; [unrolled: 1-line block ×4, first 2 shown]
	v_add_f64_e64 v[165:166], v[84:85], -v[32:33]
	v_add_f64_e32 v[131:132], v[86:87], v[34:35]
	v_add_f64_e64 v[169:170], v[94:95], -v[66:67]
	v_add_f64_e32 v[135:136], v[92:93], v[64:65]
	s_mov_b32 s14, 0x3259b75e
	s_mov_b32 s30, 0x6c9a05f6
	;; [unrolled: 1-line block ×4, first 2 shown]
	v_add_f64_e64 v[173:174], v[92:93], -v[64:65]
	v_add_f64_e32 v[139:140], v[94:95], v[66:67]
	v_add_f64_e64 v[177:178], v[98:99], -v[70:71]
	s_mov_b32 s28, 0x923c349f
	s_mov_b32 s29, 0xbfeec746
	v_add_f64_e32 v[151:152], v[96:97], v[68:69]
	v_mul_f64_e32 v[0:1], s[24:25], v[56:57]
	v_mul_f64_e32 v[2:3], s[26:27], v[58:59]
	;; [unrolled: 1-line block ×4, first 2 shown]
	s_mov_b32 s16, 0xc61f0d01
	s_mov_b32 s17, 0xbfd183b1
	v_add_f64_e64 v[181:182], v[96:97], -v[68:69]
	v_mul_f64_e32 v[4:5], s[26:27], v[62:63]
	v_mul_f64_e32 v[8:9], s[34:35], v[62:63]
	;; [unrolled: 1-line block ×3, first 2 shown]
	v_add_f64_e32 v[155:156], v[98:99], v[70:71]
	v_add_f64_e64 v[183:184], v[102:103], -v[78:79]
	v_add_f64_e32 v[159:160], v[100:101], v[76:77]
	s_mov_b32 s18, 0x6ed5f1bb
	s_mov_b32 s19, 0xbfe348c8
	v_add_f64_e64 v[185:186], v[100:101], -v[76:77]
	v_add_f64_e32 v[163:164], v[102:103], v[78:79]
	v_add_f64_e64 v[187:188], v[106:107], -v[90:91]
	s_mov_b32 s38, 0x4363dd80
	s_mov_b32 s39, 0xbfe0d888
	v_add_f64_e32 v[167:168], v[104:105], v[88:89]
	s_mov_b32 s20, 0x910ea3b9
	s_mov_b32 s21, 0xbfeb34fa
	v_add_f64_e64 v[189:190], v[104:105], -v[88:89]
	v_add_f64_e32 v[171:172], v[106:107], v[90:91]
	v_add_f64_e64 v[191:192], v[110:111], -v[114:115]
	s_mov_b32 s40, 0xacd6c6b4
	s_mov_b32 s41, 0xbfc7851a
	v_add_f64_e32 v[175:176], v[108:109], v[112:113]
	s_mov_b32 s22, 0x7faef3
	s_mov_b32 s23, 0xbfef7484
	v_add_f64_e64 v[193:194], v[108:109], -v[112:113]
	v_add_f64_e32 v[179:180], v[110:111], v[114:115]
	v_mul_f64_e32 v[237:238], s[26:27], v[56:57]
	v_mul_f64_e32 v[239:240], s[26:27], v[60:61]
	s_mov_b32 s53, 0x3fe0d888
	s_mov_b32 s52, s38
	;; [unrolled: 1-line block ×4, first 2 shown]
	s_clause 0x1
	scratch_store_b64 off, v[2:3], off offset:24
	scratch_store_b64 off, v[0:1], off offset:96
	s_wait_alu 0xfffe
	v_fma_f64 v[0:1], v[143:144], s[0:1], v[0:1]
	v_fma_f64 v[2:3], v[119:120], s[6:7], v[2:3]
	s_mov_b32 s43, 0x3feca52d
	s_mov_b32 s42, s36
	scratch_store_b64 off, v[4:5], off offset:40 ; 8-byte Folded Spill
	v_fma_f64 v[4:5], v[123:124], s[6:7], -v[4:5]
	s_mov_b32 s45, 0x3fd71e95
	s_mov_b32 s44, s24
	v_mul_f64_e32 v[241:242], s[36:37], v[56:57]
	v_mul_f64_e32 v[243:244], s[36:37], v[60:61]
	s_mov_b32 s47, 0x3fc7851a
	s_mov_b32 s46, s40
	v_mul_f64_e32 v[227:228], s[48:49], v[173:174]
	v_mul_f64_e32 v[225:226], s[24:25], v[183:184]
	;; [unrolled: 1-line block ×17, first 2 shown]
	s_mov_b32 s51, 0x3fe9895b
	s_mov_b32 s50, s30
	v_mul_f64_e32 v[36:37], s[28:29], v[56:57]
	v_mul_f64_e32 v[125:126], s[50:51], v[187:188]
	;; [unrolled: 1-line block ×6, first 2 shown]
	scratch_store_b64 off, v[6:7], off offset:176 ; 8-byte Folded Spill
	v_add_f64_e32 v[0:1], v[20:21], v[0:1]
	v_fma_f64 v[6:7], v[119:120], s[14:15], v[6:7]
	scratch_store_b64 off, v[8:9], off offset:200 ; 8-byte Folded Spill
	v_fma_f64 v[8:9], v[123:124], s[14:15], -v[8:9]
	scratch_store_b64 off, v[12:13], off offset:304 ; 8-byte Folded Spill
	v_fma_f64 v[12:13], v[123:124], s[18:19], -v[12:13]
	scratch_store_b64 off, v[10:11], off offset:256 ; 8-byte Folded Spill
	v_fma_f64 v[10:11], v[119:120], s[18:19], v[10:11]
	v_fma_f64 v[14:15], v[119:120], s[22:23], v[245:246]
	v_fma_f64 v[16:17], v[123:124], s[22:23], -v[253:254]
	v_fma_f64 v[18:19], v[119:120], s[20:21], -v[38:39]
	v_fma_f64 v[38:39], v[119:120], s[20:21], v[38:39]
	v_fma_f64 v[44:45], v[123:124], s[20:21], v[42:43]
	v_add_f64_e32 v[0:1], v[2:3], v[0:1]
	v_mul_f64_e32 v[2:3], s[24:25], v[60:61]
	scratch_store_b64 off, v[2:3], off offset:104 ; 8-byte Folded Spill
	v_fma_f64 v[2:3], v[147:148], s[0:1], -v[2:3]
	s_delay_alu instid0(VALU_DEP_1) | instskip(NEXT) | instid1(VALU_DEP_1)
	v_add_f64_e32 v[2:3], v[22:23], v[2:3]
	v_add_f64_e32 v[2:3], v[4:5], v[2:3]
	v_mul_f64_e32 v[4:5], s[36:37], v[161:162]
	scratch_store_b64 off, v[4:5], off offset:56 ; 8-byte Folded Spill
	v_fma_f64 v[4:5], v[127:128], s[10:11], v[4:5]
	s_delay_alu instid0(VALU_DEP_1) | instskip(SKIP_3) | instid1(VALU_DEP_1)
	v_add_f64_e32 v[0:1], v[4:5], v[0:1]
	v_mul_f64_e32 v[4:5], s[36:37], v[165:166]
	scratch_store_b64 off, v[4:5], off offset:72 ; 8-byte Folded Spill
	v_fma_f64 v[4:5], v[131:132], s[10:11], -v[4:5]
	v_add_f64_e32 v[2:3], v[4:5], v[2:3]
	v_mul_f64_e32 v[4:5], s[34:35], v[169:170]
	scratch_store_b64 off, v[4:5], off offset:80 ; 8-byte Folded Spill
	v_fma_f64 v[4:5], v[135:136], s[14:15], v[4:5]
	s_delay_alu instid0(VALU_DEP_1) | instskip(SKIP_3) | instid1(VALU_DEP_1)
	v_add_f64_e32 v[0:1], v[4:5], v[0:1]
	v_mul_f64_e32 v[4:5], s[34:35], v[173:174]
	scratch_store_b64 off, v[4:5], off offset:88 ; 8-byte Folded Spill
	v_fma_f64 v[4:5], v[139:140], s[14:15], -v[4:5]
	;; [unrolled: 9-line block ×6, first 2 shown]
	v_add_f64_e32 v[2:3], v[4:5], v[2:3]
	v_fma_f64 v[4:5], v[143:144], s[6:7], v[237:238]
	s_delay_alu instid0(VALU_DEP_1) | instskip(NEXT) | instid1(VALU_DEP_1)
	v_add_f64_e32 v[4:5], v[20:21], v[4:5]
	v_add_f64_e32 v[4:5], v[6:7], v[4:5]
	v_fma_f64 v[6:7], v[147:148], s[6:7], -v[239:240]
	s_delay_alu instid0(VALU_DEP_1) | instskip(NEXT) | instid1(VALU_DEP_1)
	v_add_f64_e32 v[6:7], v[22:23], v[6:7]
	v_add_f64_e32 v[6:7], v[8:9], v[6:7]
	v_mul_f64_e32 v[8:9], s[30:31], v[161:162]
	scratch_store_b64 off, v[8:9], off offset:184 ; 8-byte Folded Spill
	v_fma_f64 v[8:9], v[127:128], s[18:19], v[8:9]
	s_delay_alu instid0(VALU_DEP_1) | instskip(SKIP_3) | instid1(VALU_DEP_1)
	v_add_f64_e32 v[4:5], v[8:9], v[4:5]
	v_mul_f64_e32 v[8:9], s[30:31], v[165:166]
	scratch_store_b64 off, v[8:9], off offset:208 ; 8-byte Folded Spill
	v_fma_f64 v[8:9], v[131:132], s[18:19], -v[8:9]
	v_add_f64_e32 v[6:7], v[8:9], v[6:7]
	v_mul_f64_e32 v[8:9], s[40:41], v[169:170]
	scratch_store_b64 off, v[8:9], off offset:192 ; 8-byte Folded Spill
	v_fma_f64 v[8:9], v[135:136], s[22:23], v[8:9]
	s_delay_alu instid0(VALU_DEP_1) | instskip(SKIP_3) | instid1(VALU_DEP_1)
	v_add_f64_e32 v[4:5], v[8:9], v[4:5]
	v_mul_f64_e32 v[8:9], s[40:41], v[173:174]
	scratch_store_b64 off, v[8:9], off offset:224 ; 8-byte Folded Spill
	v_fma_f64 v[8:9], v[139:140], s[22:23], -v[8:9]
	;; [unrolled: 9-line block ×6, first 2 shown]
	v_add_f64_e32 v[6:7], v[8:9], v[6:7]
	v_fma_f64 v[8:9], v[143:144], s[10:11], v[241:242]
	s_delay_alu instid0(VALU_DEP_1) | instskip(NEXT) | instid1(VALU_DEP_1)
	v_add_f64_e32 v[8:9], v[20:21], v[8:9]
	v_add_f64_e32 v[8:9], v[10:11], v[8:9]
	v_fma_f64 v[10:11], v[147:148], s[10:11], -v[243:244]
	s_delay_alu instid0(VALU_DEP_1) | instskip(NEXT) | instid1(VALU_DEP_1)
	v_add_f64_e32 v[10:11], v[22:23], v[10:11]
	v_add_f64_e32 v[10:11], v[12:13], v[10:11]
	v_mul_f64_e32 v[12:13], s[46:47], v[161:162]
	scratch_store_b64 off, v[12:13], off offset:296 ; 8-byte Folded Spill
	v_fma_f64 v[12:13], v[127:128], s[22:23], v[12:13]
	s_delay_alu instid0(VALU_DEP_1)
	v_add_f64_e32 v[8:9], v[12:13], v[8:9]
	v_mul_f64_e32 v[12:13], s[46:47], v[165:166]
	s_mov_b32 s47, 0x3fe58eea
	s_mov_b32 s46, s26
	s_wait_alu 0xfffe
	v_mul_f64_e32 v[231:232], s[46:47], v[181:182]
	v_mul_f64_e32 v[251:252], s[46:47], v[191:192]
	v_mul_f64_e32 v[141:142], s[46:47], v[193:194]
	scratch_store_b64 off, v[12:13], off offset:336 ; 8-byte Folded Spill
	v_fma_f64 v[12:13], v[131:132], s[22:23], -v[12:13]
	s_delay_alu instid0(VALU_DEP_1) | instskip(SKIP_3) | instid1(VALU_DEP_1)
	v_add_f64_e32 v[10:11], v[12:13], v[10:11]
	v_mul_f64_e32 v[12:13], s[48:49], v[169:170]
	scratch_store_b64 off, v[12:13], off offset:312 ; 8-byte Folded Spill
	v_fma_f64 v[12:13], v[135:136], s[16:17], v[12:13]
	v_add_f64_e32 v[8:9], v[12:13], v[8:9]
	v_fma_f64 v[12:13], v[139:140], s[16:17], -v[227:228]
	s_delay_alu instid0(VALU_DEP_1) | instskip(SKIP_3) | instid1(VALU_DEP_1)
	v_add_f64_e32 v[10:11], v[12:13], v[10:11]
	v_mul_f64_e32 v[12:13], s[46:47], v[177:178]
	scratch_store_b64 off, v[12:13], off offset:344 ; 8-byte Folded Spill
	v_fma_f64 v[12:13], v[151:152], s[6:7], v[12:13]
	v_add_f64_e32 v[8:9], v[12:13], v[8:9]
	v_fma_f64 v[12:13], v[155:156], s[6:7], -v[231:232]
	s_delay_alu instid0(VALU_DEP_1) | instskip(SKIP_1) | instid1(VALU_DEP_1)
	v_add_f64_e32 v[10:11], v[12:13], v[10:11]
	v_fma_f64 v[12:13], v[159:160], s[0:1], v[225:226]
	v_add_f64_e32 v[8:9], v[12:13], v[8:9]
	v_fma_f64 v[12:13], v[163:164], s[0:1], -v[235:236]
	s_delay_alu instid0(VALU_DEP_1) | instskip(SKIP_3) | instid1(VALU_DEP_1)
	v_add_f64_e32 v[10:11], v[12:13], v[10:11]
	v_mul_f64_e32 v[12:13], s[34:35], v[187:188]
	scratch_store_b64 off, v[12:13], off offset:328 ; 8-byte Folded Spill
	v_fma_f64 v[12:13], v[167:168], s[14:15], v[12:13]
	v_add_f64_e32 v[8:9], v[12:13], v[8:9]
	v_fma_f64 v[12:13], v[171:172], s[14:15], -v[233:234]
	s_delay_alu instid0(VALU_DEP_1)
	v_add_f64_e32 v[10:11], v[12:13], v[10:11]
	v_mul_f64_e32 v[12:13], s[38:39], v[191:192]
	scratch_store_b64 off, v[12:13], off offset:320 ; 8-byte Folded Spill
	v_fma_f64 v[12:13], v[175:176], s[20:21], v[12:13]
	global_wb scope:SCOPE_SE
	s_wait_storecnt 0x0
	s_barrier_signal -1
	s_barrier_wait -1
	global_inv scope:SCOPE_SE
	v_add_f64_e32 v[8:9], v[12:13], v[8:9]
	v_fma_f64 v[12:13], v[179:180], s[20:21], -v[229:230]
	s_delay_alu instid0(VALU_DEP_1) | instskip(SKIP_1) | instid1(VALU_DEP_1)
	v_add_f64_e32 v[10:11], v[12:13], v[10:11]
	v_fma_f64 v[12:13], v[143:144], s[14:15], v[153:154]
	v_add_f64_e32 v[12:13], v[20:21], v[12:13]
	s_delay_alu instid0(VALU_DEP_1) | instskip(SKIP_1) | instid1(VALU_DEP_1)
	v_add_f64_e32 v[12:13], v[14:15], v[12:13]
	v_fma_f64 v[14:15], v[147:148], s[14:15], -v[157:158]
	v_add_f64_e32 v[14:15], v[22:23], v[14:15]
	s_delay_alu instid0(VALU_DEP_1) | instskip(SKIP_1) | instid1(VALU_DEP_1)
	v_add_f64_e32 v[14:15], v[16:17], v[14:15]
	v_fma_f64 v[16:17], v[127:128], s[16:17], v[247:248]
	v_add_f64_e32 v[12:13], v[16:17], v[12:13]
	v_fma_f64 v[16:17], v[131:132], s[16:17], -v[129:130]
	s_delay_alu instid0(VALU_DEP_1) | instskip(SKIP_1) | instid1(VALU_DEP_1)
	v_add_f64_e32 v[14:15], v[16:17], v[14:15]
	v_fma_f64 v[16:17], v[135:136], s[0:1], v[249:250]
	v_add_f64_e32 v[12:13], v[16:17], v[12:13]
	v_fma_f64 v[16:17], v[139:140], s[0:1], -v[133:134]
	;; [unrolled: 5-line block ×6, first 2 shown]
	s_delay_alu instid0(VALU_DEP_1) | instskip(SKIP_2) | instid1(VALU_DEP_2)
	v_add_f64_e32 v[14:15], v[16:17], v[14:15]
	v_fma_f64 v[16:17], v[143:144], s[16:17], -v[36:37]
	v_fma_f64 v[36:37], v[143:144], s[16:17], v[36:37]
	v_add_f64_e32 v[16:17], v[20:21], v[16:17]
	s_delay_alu instid0(VALU_DEP_2) | instskip(NEXT) | instid1(VALU_DEP_2)
	v_add_f64_e32 v[36:37], v[20:21], v[36:37]
	v_add_f64_e32 v[16:17], v[18:19], v[16:17]
	v_fma_f64 v[18:19], v[147:148], s[16:17], v[40:41]
	s_delay_alu instid0(VALU_DEP_3) | instskip(SKIP_2) | instid1(VALU_DEP_4)
	v_add_f64_e32 v[36:37], v[38:39], v[36:37]
	v_fma_f64 v[38:39], v[147:148], s[16:17], -v[40:41]
	v_fma_f64 v[40:41], v[123:124], s[20:21], -v[42:43]
	v_add_f64_e32 v[18:19], v[22:23], v[18:19]
	s_delay_alu instid0(VALU_DEP_3) | instskip(NEXT) | instid1(VALU_DEP_2)
	v_add_f64_e32 v[38:39], v[22:23], v[38:39]
	v_add_f64_e32 v[18:19], v[44:45], v[18:19]
	v_mul_f64_e32 v[44:45], s[46:47], v[161:162]
	s_delay_alu instid0(VALU_DEP_3) | instskip(NEXT) | instid1(VALU_DEP_2)
	v_add_f64_e32 v[38:39], v[40:41], v[38:39]
	v_fma_f64 v[46:47], v[127:128], s[6:7], -v[44:45]
	v_fma_f64 v[40:41], v[127:128], s[6:7], v[44:45]
	v_mul_f64_e32 v[44:45], s[30:31], v[56:57]
	s_delay_alu instid0(VALU_DEP_3) | instskip(SKIP_1) | instid1(VALU_DEP_4)
	v_add_f64_e32 v[16:17], v[46:47], v[16:17]
	v_mul_f64_e32 v[46:47], s[46:47], v[165:166]
	v_add_f64_e32 v[36:37], v[40:41], v[36:37]
	s_delay_alu instid0(VALU_DEP_2) | instskip(SKIP_2) | instid1(VALU_DEP_3)
	v_fma_f64 v[48:49], v[131:132], s[6:7], v[46:47]
	v_fma_f64 v[40:41], v[131:132], s[6:7], -v[46:47]
	v_mul_f64_e32 v[46:47], s[48:49], v[58:59]
	v_add_f64_e32 v[18:19], v[48:49], v[18:19]
	v_mul_f64_e32 v[48:49], s[36:37], v[169:170]
	s_delay_alu instid0(VALU_DEP_4) | instskip(NEXT) | instid1(VALU_DEP_2)
	v_add_f64_e32 v[38:39], v[40:41], v[38:39]
	v_fma_f64 v[50:51], v[135:136], s[10:11], -v[48:49]
	v_fma_f64 v[40:41], v[135:136], s[10:11], v[48:49]
	v_mul_f64_e32 v[48:49], s[30:31], v[60:61]
	s_delay_alu instid0(VALU_DEP_3) | instskip(SKIP_3) | instid1(VALU_DEP_4)
	v_add_f64_e32 v[16:17], v[50:51], v[16:17]
	v_mul_f64_e32 v[50:51], s[36:37], v[173:174]
	s_mov_b32 s37, 0x3fefdd0d
	s_mov_b32 s36, s34
	v_add_f64_e32 v[36:37], v[40:41], v[36:37]
	s_delay_alu instid0(VALU_DEP_2) | instskip(SKIP_2) | instid1(VALU_DEP_3)
	v_fma_f64 v[52:53], v[139:140], s[10:11], v[50:51]
	v_fma_f64 v[40:41], v[139:140], s[10:11], -v[50:51]
	v_mul_f64_e32 v[50:51], s[48:49], v[62:63]
	v_add_f64_e32 v[18:19], v[52:53], v[18:19]
	v_mul_f64_e32 v[52:53], s[40:41], v[177:178]
	s_delay_alu instid0(VALU_DEP_4) | instskip(NEXT) | instid1(VALU_DEP_2)
	v_add_f64_e32 v[38:39], v[40:41], v[38:39]
	v_fma_f64 v[54:55], v[151:152], s[22:23], -v[52:53]
	v_fma_f64 v[40:41], v[151:152], s[22:23], v[52:53]
	v_fma_f64 v[52:53], v[123:124], s[16:17], v[50:51]
	s_delay_alu instid0(VALU_DEP_3) | instskip(SKIP_1) | instid1(VALU_DEP_4)
	v_add_f64_e32 v[16:17], v[54:55], v[16:17]
	v_mul_f64_e32 v[54:55], s[40:41], v[181:182]
	v_add_f64_e32 v[36:37], v[40:41], v[36:37]
	s_delay_alu instid0(VALU_DEP_2) | instskip(SKIP_1) | instid1(VALU_DEP_2)
	v_fma_f64 v[195:196], v[155:156], s[22:23], v[54:55]
	v_fma_f64 v[40:41], v[155:156], s[22:23], -v[54:55]
	v_add_f64_e32 v[18:19], v[195:196], v[18:19]
	s_wait_alu 0xfffe
	v_mul_f64_e32 v[195:196], s[36:37], v[183:184]
	s_delay_alu instid0(VALU_DEP_3) | instskip(NEXT) | instid1(VALU_DEP_2)
	v_add_f64_e32 v[38:39], v[40:41], v[38:39]
	v_fma_f64 v[197:198], v[159:160], s[14:15], -v[195:196]
	v_fma_f64 v[40:41], v[159:160], s[14:15], v[195:196]
	s_delay_alu instid0(VALU_DEP_2) | instskip(SKIP_1) | instid1(VALU_DEP_3)
	v_add_f64_e32 v[16:17], v[197:198], v[16:17]
	v_mul_f64_e32 v[197:198], s[36:37], v[185:186]
	v_add_f64_e32 v[36:37], v[40:41], v[36:37]
	s_delay_alu instid0(VALU_DEP_2) | instskip(SKIP_1) | instid1(VALU_DEP_2)
	v_fma_f64 v[199:200], v[163:164], s[14:15], v[197:198]
	v_fma_f64 v[40:41], v[163:164], s[14:15], -v[197:198]
	v_add_f64_e32 v[18:19], v[199:200], v[18:19]
	v_mul_f64_e32 v[199:200], s[24:25], v[187:188]
	s_delay_alu instid0(VALU_DEP_3) | instskip(NEXT) | instid1(VALU_DEP_2)
	v_add_f64_e32 v[38:39], v[40:41], v[38:39]
	v_fma_f64 v[201:202], v[167:168], s[0:1], -v[199:200]
	v_fma_f64 v[40:41], v[167:168], s[0:1], v[199:200]
	s_delay_alu instid0(VALU_DEP_2) | instskip(SKIP_1) | instid1(VALU_DEP_3)
	v_add_f64_e32 v[16:17], v[201:202], v[16:17]
	v_mul_f64_e32 v[201:202], s[24:25], v[189:190]
	v_add_f64_e32 v[36:37], v[40:41], v[36:37]
	s_delay_alu instid0(VALU_DEP_2) | instskip(SKIP_1) | instid1(VALU_DEP_2)
	v_fma_f64 v[203:204], v[171:172], s[0:1], v[201:202]
	v_fma_f64 v[40:41], v[171:172], s[0:1], -v[201:202]
	v_add_f64_e32 v[18:19], v[203:204], v[18:19]
	v_mul_f64_e32 v[203:204], s[30:31], v[191:192]
	s_delay_alu instid0(VALU_DEP_3) | instskip(NEXT) | instid1(VALU_DEP_2)
	v_add_f64_e32 v[38:39], v[40:41], v[38:39]
	v_fma_f64 v[205:206], v[175:176], s[18:19], -v[203:204]
	v_fma_f64 v[40:41], v[175:176], s[18:19], v[203:204]
	s_delay_alu instid0(VALU_DEP_2) | instskip(SKIP_1) | instid1(VALU_DEP_3)
	v_add_f64_e32 v[16:17], v[205:206], v[16:17]
	v_mul_f64_e32 v[205:206], s[30:31], v[193:194]
	v_add_f64_e32 v[36:37], v[40:41], v[36:37]
	v_fma_f64 v[40:41], v[143:144], s[18:19], -v[44:45]
	v_fma_f64 v[44:45], v[143:144], s[18:19], v[44:45]
	s_delay_alu instid0(VALU_DEP_4) | instskip(SKIP_1) | instid1(VALU_DEP_4)
	v_fma_f64 v[42:43], v[179:180], s[18:19], -v[205:206]
	v_fma_f64 v[207:208], v[179:180], s[18:19], v[205:206]
	v_add_f64_e32 v[40:41], v[20:21], v[40:41]
	s_delay_alu instid0(VALU_DEP_4) | instskip(NEXT) | instid1(VALU_DEP_4)
	v_add_f64_e32 v[44:45], v[20:21], v[44:45]
	v_add_f64_e32 v[38:39], v[42:43], v[38:39]
	v_fma_f64 v[42:43], v[119:120], s[16:17], -v[46:47]
	v_fma_f64 v[46:47], v[119:120], s[16:17], v[46:47]
	v_add_f64_e32 v[18:19], v[207:208], v[18:19]
	s_delay_alu instid0(VALU_DEP_3) | instskip(SKIP_1) | instid1(VALU_DEP_4)
	v_add_f64_e32 v[40:41], v[42:43], v[40:41]
	v_fma_f64 v[42:43], v[147:148], s[18:19], v[48:49]
	v_add_f64_e32 v[44:45], v[46:47], v[44:45]
	v_fma_f64 v[46:47], v[147:148], s[18:19], -v[48:49]
	v_fma_f64 v[48:49], v[123:124], s[16:17], -v[50:51]
	s_delay_alu instid0(VALU_DEP_4) | instskip(NEXT) | instid1(VALU_DEP_3)
	v_add_f64_e32 v[42:43], v[22:23], v[42:43]
	v_add_f64_e32 v[46:47], v[22:23], v[46:47]
	s_delay_alu instid0(VALU_DEP_2) | instskip(SKIP_1) | instid1(VALU_DEP_3)
	v_add_f64_e32 v[42:43], v[52:53], v[42:43]
	v_mul_f64_e32 v[52:53], s[24:25], v[161:162]
	v_add_f64_e32 v[46:47], v[48:49], v[46:47]
	s_delay_alu instid0(VALU_DEP_2) | instskip(SKIP_2) | instid1(VALU_DEP_3)
	v_fma_f64 v[54:55], v[127:128], s[0:1], -v[52:53]
	v_fma_f64 v[48:49], v[127:128], s[0:1], v[52:53]
	v_mul_f64_e32 v[52:53], s[38:39], v[56:57]
	v_add_f64_e32 v[40:41], v[54:55], v[40:41]
	v_mul_f64_e32 v[54:55], s[24:25], v[165:166]
	s_delay_alu instid0(VALU_DEP_4) | instskip(NEXT) | instid1(VALU_DEP_2)
	v_add_f64_e32 v[44:45], v[48:49], v[44:45]
	v_fma_f64 v[195:196], v[131:132], s[0:1], v[54:55]
	v_fma_f64 v[48:49], v[131:132], s[0:1], -v[54:55]
	v_mul_f64_e32 v[54:55], s[42:43], v[58:59]
	s_delay_alu instid0(VALU_DEP_3) | instskip(SKIP_1) | instid1(VALU_DEP_4)
	v_add_f64_e32 v[42:43], v[195:196], v[42:43]
	v_mul_f64_e32 v[195:196], s[38:39], v[169:170]
	v_add_f64_e32 v[46:47], v[48:49], v[46:47]
	s_delay_alu instid0(VALU_DEP_2) | instskip(SKIP_3) | instid1(VALU_DEP_4)
	v_fma_f64 v[197:198], v[135:136], s[20:21], -v[195:196]
	v_fma_f64 v[48:49], v[135:136], s[20:21], v[195:196]
	v_mul_f64_e32 v[195:196], s[38:39], v[60:61]
	v_mul_f64_e32 v[60:61], s[40:41], v[60:61]
	v_add_f64_e32 v[40:41], v[197:198], v[40:41]
	v_mul_f64_e32 v[197:198], s[38:39], v[173:174]
	v_add_f64_e32 v[44:45], v[48:49], v[44:45]
	s_delay_alu instid0(VALU_DEP_2) | instskip(SKIP_3) | instid1(VALU_DEP_4)
	v_fma_f64 v[199:200], v[139:140], s[20:21], v[197:198]
	v_fma_f64 v[48:49], v[139:140], s[20:21], -v[197:198]
	v_mul_f64_e32 v[197:198], s[42:43], v[62:63]
	v_mul_f64_e32 v[62:63], s[44:45], v[62:63]
	v_add_f64_e32 v[42:43], v[199:200], v[42:43]
	v_mul_f64_e32 v[199:200], s[36:37], v[177:178]
	v_add_f64_e32 v[46:47], v[48:49], v[46:47]
	s_delay_alu instid0(VALU_DEP_2) | instskip(SKIP_2) | instid1(VALU_DEP_3)
	v_fma_f64 v[201:202], v[151:152], s[14:15], -v[199:200]
	v_fma_f64 v[48:49], v[151:152], s[14:15], v[199:200]
	v_fma_f64 v[199:200], v[123:124], s[10:11], v[197:198]
	v_add_f64_e32 v[40:41], v[201:202], v[40:41]
	v_mul_f64_e32 v[201:202], s[36:37], v[181:182]
	s_delay_alu instid0(VALU_DEP_4) | instskip(NEXT) | instid1(VALU_DEP_2)
	v_add_f64_e32 v[44:45], v[48:49], v[44:45]
	v_fma_f64 v[203:204], v[155:156], s[14:15], v[201:202]
	v_fma_f64 v[48:49], v[155:156], s[14:15], -v[201:202]
	s_delay_alu instid0(VALU_DEP_2) | instskip(SKIP_1) | instid1(VALU_DEP_3)
	v_add_f64_e32 v[42:43], v[203:204], v[42:43]
	v_mul_f64_e32 v[203:204], s[26:27], v[183:184]
	v_add_f64_e32 v[46:47], v[48:49], v[46:47]
	s_delay_alu instid0(VALU_DEP_2) | instskip(SKIP_1) | instid1(VALU_DEP_2)
	v_fma_f64 v[205:206], v[159:160], s[6:7], -v[203:204]
	v_fma_f64 v[48:49], v[159:160], s[6:7], v[203:204]
	v_add_f64_e32 v[40:41], v[205:206], v[40:41]
	v_mul_f64_e32 v[205:206], s[26:27], v[185:186]
	s_delay_alu instid0(VALU_DEP_3) | instskip(NEXT) | instid1(VALU_DEP_2)
	v_add_f64_e32 v[44:45], v[48:49], v[44:45]
	v_fma_f64 v[207:208], v[163:164], s[6:7], v[205:206]
	v_fma_f64 v[48:49], v[163:164], s[6:7], -v[205:206]
	s_delay_alu instid0(VALU_DEP_2) | instskip(SKIP_1) | instid1(VALU_DEP_3)
	v_add_f64_e32 v[42:43], v[207:208], v[42:43]
	v_mul_f64_e32 v[207:208], s[40:41], v[187:188]
	v_add_f64_e32 v[46:47], v[48:49], v[46:47]
	s_delay_alu instid0(VALU_DEP_2) | instskip(SKIP_1) | instid1(VALU_DEP_2)
	v_fma_f64 v[209:210], v[167:168], s[22:23], -v[207:208]
	v_fma_f64 v[48:49], v[167:168], s[22:23], v[207:208]
	v_add_f64_e32 v[40:41], v[209:210], v[40:41]
	v_mul_f64_e32 v[209:210], s[40:41], v[189:190]
	s_delay_alu instid0(VALU_DEP_3) | instskip(NEXT) | instid1(VALU_DEP_2)
	v_add_f64_e32 v[44:45], v[48:49], v[44:45]
	v_fma_f64 v[211:212], v[171:172], s[22:23], v[209:210]
	v_fma_f64 v[48:49], v[171:172], s[22:23], -v[209:210]
	s_delay_alu instid0(VALU_DEP_2) | instskip(SKIP_1) | instid1(VALU_DEP_3)
	v_add_f64_e32 v[42:43], v[211:212], v[42:43]
	v_mul_f64_e32 v[211:212], s[42:43], v[191:192]
	v_add_f64_e32 v[46:47], v[48:49], v[46:47]
	s_delay_alu instid0(VALU_DEP_2) | instskip(SKIP_1) | instid1(VALU_DEP_2)
	v_fma_f64 v[213:214], v[175:176], s[10:11], -v[211:212]
	v_fma_f64 v[48:49], v[175:176], s[10:11], v[211:212]
	v_add_f64_e32 v[40:41], v[213:214], v[40:41]
	v_mul_f64_e32 v[213:214], s[42:43], v[193:194]
	s_delay_alu instid0(VALU_DEP_3) | instskip(SKIP_2) | instid1(VALU_DEP_4)
	v_add_f64_e32 v[44:45], v[48:49], v[44:45]
	v_fma_f64 v[48:49], v[143:144], s[20:21], -v[52:53]
	v_fma_f64 v[52:53], v[143:144], s[20:21], v[52:53]
	v_fma_f64 v[50:51], v[179:180], s[10:11], -v[213:214]
	v_fma_f64 v[215:216], v[179:180], s[10:11], v[213:214]
	s_delay_alu instid0(VALU_DEP_4) | instskip(NEXT) | instid1(VALU_DEP_4)
	v_add_f64_e32 v[48:49], v[20:21], v[48:49]
	v_add_f64_e32 v[52:53], v[20:21], v[52:53]
	s_delay_alu instid0(VALU_DEP_4) | instskip(SKIP_3) | instid1(VALU_DEP_3)
	v_add_f64_e32 v[46:47], v[50:51], v[46:47]
	v_fma_f64 v[50:51], v[119:120], s[10:11], -v[54:55]
	v_fma_f64 v[54:55], v[119:120], s[10:11], v[54:55]
	v_add_f64_e32 v[42:43], v[215:216], v[42:43]
	v_add_f64_e32 v[48:49], v[50:51], v[48:49]
	v_fma_f64 v[50:51], v[147:148], s[20:21], v[195:196]
	s_delay_alu instid0(VALU_DEP_4) | instskip(SKIP_2) | instid1(VALU_DEP_4)
	v_add_f64_e32 v[52:53], v[54:55], v[52:53]
	v_fma_f64 v[54:55], v[147:148], s[20:21], -v[195:196]
	v_fma_f64 v[195:196], v[123:124], s[10:11], -v[197:198]
	v_add_f64_e32 v[50:51], v[22:23], v[50:51]
	s_delay_alu instid0(VALU_DEP_3) | instskip(NEXT) | instid1(VALU_DEP_2)
	v_add_f64_e32 v[54:55], v[22:23], v[54:55]
	v_add_f64_e32 v[50:51], v[199:200], v[50:51]
	v_mul_f64_e32 v[199:200], s[34:35], v[161:162]
	s_delay_alu instid0(VALU_DEP_3) | instskip(SKIP_1) | instid1(VALU_DEP_3)
	v_add_f64_e32 v[54:55], v[195:196], v[54:55]
	v_mul_f64_e32 v[161:162], s[38:39], v[161:162]
	v_fma_f64 v[201:202], v[127:128], s[14:15], -v[199:200]
	v_fma_f64 v[195:196], v[127:128], s[14:15], v[199:200]
	v_fma_f64 v[199:200], v[123:124], s[0:1], v[62:63]
	v_fma_f64 v[62:63], v[123:124], s[0:1], -v[62:63]
	s_delay_alu instid0(VALU_DEP_4) | instskip(SKIP_3) | instid1(VALU_DEP_3)
	v_add_f64_e32 v[48:49], v[201:202], v[48:49]
	v_mul_f64_e32 v[201:202], s[34:35], v[165:166]
	v_add_f64_e32 v[52:53], v[195:196], v[52:53]
	v_mul_f64_e32 v[165:166], s[38:39], v[165:166]
	v_fma_f64 v[203:204], v[131:132], s[14:15], v[201:202]
	v_fma_f64 v[195:196], v[131:132], s[14:15], -v[201:202]
	s_delay_alu instid0(VALU_DEP_2) | instskip(SKIP_1) | instid1(VALU_DEP_3)
	v_add_f64_e32 v[50:51], v[203:204], v[50:51]
	v_mul_f64_e32 v[203:204], s[50:51], v[169:170]
	v_add_f64_e32 v[54:55], v[195:196], v[54:55]
	v_mul_f64_e32 v[169:170], s[46:47], v[169:170]
	s_delay_alu instid0(VALU_DEP_3) | instskip(SKIP_1) | instid1(VALU_DEP_2)
	v_fma_f64 v[205:206], v[135:136], s[18:19], -v[203:204]
	v_fma_f64 v[195:196], v[135:136], s[18:19], v[203:204]
	v_add_f64_e32 v[48:49], v[205:206], v[48:49]
	v_mul_f64_e32 v[205:206], s[50:51], v[173:174]
	s_delay_alu instid0(VALU_DEP_3) | instskip(SKIP_1) | instid1(VALU_DEP_3)
	v_add_f64_e32 v[52:53], v[195:196], v[52:53]
	v_mul_f64_e32 v[173:174], s[46:47], v[173:174]
	v_fma_f64 v[207:208], v[139:140], s[18:19], v[205:206]
	v_fma_f64 v[195:196], v[139:140], s[18:19], -v[205:206]
	s_delay_alu instid0(VALU_DEP_2) | instskip(SKIP_1) | instid1(VALU_DEP_3)
	v_add_f64_e32 v[50:51], v[207:208], v[50:51]
	v_mul_f64_e32 v[207:208], s[24:25], v[177:178]
	v_add_f64_e32 v[54:55], v[195:196], v[54:55]
	v_mul_f64_e32 v[177:178], s[30:31], v[177:178]
	s_delay_alu instid0(VALU_DEP_3) | instskip(SKIP_1) | instid1(VALU_DEP_2)
	v_fma_f64 v[209:210], v[151:152], s[0:1], -v[207:208]
	v_fma_f64 v[195:196], v[151:152], s[0:1], v[207:208]
	v_add_f64_e32 v[48:49], v[209:210], v[48:49]
	v_mul_f64_e32 v[209:210], s[24:25], v[181:182]
	s_delay_alu instid0(VALU_DEP_3) | instskip(SKIP_1) | instid1(VALU_DEP_3)
	;; [unrolled: 15-line block ×4, first 2 shown]
	v_add_f64_e32 v[52:53], v[195:196], v[52:53]
	v_mul_f64_e32 v[189:190], s[28:29], v[189:190]
	v_fma_f64 v[219:220], v[171:172], s[6:7], v[217:218]
	v_fma_f64 v[195:196], v[171:172], s[6:7], -v[217:218]
	s_delay_alu instid0(VALU_DEP_2) | instskip(SKIP_1) | instid1(VALU_DEP_3)
	v_add_f64_e32 v[50:51], v[219:220], v[50:51]
	v_mul_f64_e32 v[219:220], s[28:29], v[191:192]
	v_add_f64_e32 v[54:55], v[195:196], v[54:55]
	v_mul_f64_e32 v[191:192], s[36:37], v[191:192]
	s_delay_alu instid0(VALU_DEP_3) | instskip(SKIP_1) | instid1(VALU_DEP_2)
	v_fma_f64 v[221:222], v[175:176], s[16:17], -v[219:220]
	v_fma_f64 v[195:196], v[175:176], s[16:17], v[219:220]
	v_add_f64_e32 v[48:49], v[221:222], v[48:49]
	v_mul_f64_e32 v[221:222], s[28:29], v[193:194]
	s_delay_alu instid0(VALU_DEP_3) | instskip(SKIP_2) | instid1(VALU_DEP_4)
	v_add_f64_e32 v[52:53], v[195:196], v[52:53]
	v_mul_f64_e32 v[195:196], s[40:41], v[56:57]
	v_mul_f64_e32 v[193:194], s[36:37], v[193:194]
	v_fma_f64 v[197:198], v[179:180], s[16:17], -v[221:222]
	v_fma_f64 v[223:224], v[179:180], s[16:17], v[221:222]
	s_delay_alu instid0(VALU_DEP_4) | instskip(SKIP_1) | instid1(VALU_DEP_4)
	v_fma_f64 v[56:57], v[143:144], s[22:23], -v[195:196]
	v_fma_f64 v[195:196], v[143:144], s[22:23], v[195:196]
	v_add_f64_e32 v[54:55], v[197:198], v[54:55]
	v_mul_f64_e32 v[197:198], s[44:45], v[58:59]
	s_delay_alu instid0(VALU_DEP_4) | instskip(NEXT) | instid1(VALU_DEP_4)
	v_add_f64_e32 v[56:57], v[20:21], v[56:57]
	v_add_f64_e32 v[195:196], v[20:21], v[195:196]
	;; [unrolled: 1-line block ×3, first 2 shown]
	s_delay_alu instid0(VALU_DEP_4) | instskip(SKIP_1) | instid1(VALU_DEP_2)
	v_fma_f64 v[58:59], v[119:120], s[0:1], -v[197:198]
	v_fma_f64 v[197:198], v[119:120], s[0:1], v[197:198]
	v_add_f64_e32 v[56:57], v[58:59], v[56:57]
	v_fma_f64 v[58:59], v[147:148], s[22:23], v[60:61]
	v_fma_f64 v[60:61], v[147:148], s[22:23], -v[60:61]
	s_delay_alu instid0(VALU_DEP_4) | instskip(NEXT) | instid1(VALU_DEP_3)
	v_add_f64_e32 v[195:196], v[197:198], v[195:196]
	v_add_f64_e32 v[58:59], v[22:23], v[58:59]
	s_delay_alu instid0(VALU_DEP_3) | instskip(NEXT) | instid1(VALU_DEP_2)
	v_add_f64_e32 v[60:61], v[22:23], v[60:61]
	v_add_f64_e32 v[58:59], v[199:200], v[58:59]
	v_fma_f64 v[199:200], v[127:128], s[20:21], -v[161:162]
	s_delay_alu instid0(VALU_DEP_3) | instskip(SKIP_2) | instid1(VALU_DEP_4)
	v_add_f64_e32 v[60:61], v[62:63], v[60:61]
	v_fma_f64 v[62:63], v[127:128], s[20:21], v[161:162]
	v_fma_f64 v[161:162], v[131:132], s[20:21], -v[165:166]
	v_add_f64_e32 v[56:57], v[199:200], v[56:57]
	v_fma_f64 v[199:200], v[131:132], s[20:21], v[165:166]
	s_delay_alu instid0(VALU_DEP_4) | instskip(NEXT) | instid1(VALU_DEP_4)
	v_add_f64_e32 v[62:63], v[62:63], v[195:196]
	v_add_f64_e32 v[60:61], v[161:162], v[60:61]
	v_fma_f64 v[161:162], v[135:136], s[6:7], v[169:170]
	v_fma_f64 v[165:166], v[179:180], s[14:15], -v[193:194]
	v_add_f64_e32 v[58:59], v[199:200], v[58:59]
	v_fma_f64 v[199:200], v[135:136], s[6:7], -v[169:170]
	s_delay_alu instid0(VALU_DEP_4) | instskip(SKIP_1) | instid1(VALU_DEP_3)
	v_add_f64_e32 v[62:63], v[161:162], v[62:63]
	v_fma_f64 v[161:162], v[139:140], s[6:7], -v[173:174]
	v_add_f64_e32 v[56:57], v[199:200], v[56:57]
	v_fma_f64 v[199:200], v[139:140], s[6:7], v[173:174]
	s_delay_alu instid0(VALU_DEP_3) | instskip(SKIP_1) | instid1(VALU_DEP_3)
	v_add_f64_e32 v[60:61], v[161:162], v[60:61]
	v_fma_f64 v[161:162], v[151:152], s[18:19], v[177:178]
	v_add_f64_e32 v[58:59], v[199:200], v[58:59]
	v_fma_f64 v[199:200], v[151:152], s[18:19], -v[177:178]
	s_delay_alu instid0(VALU_DEP_3) | instskip(SKIP_1) | instid1(VALU_DEP_3)
	v_add_f64_e32 v[62:63], v[161:162], v[62:63]
	v_fma_f64 v[161:162], v[155:156], s[18:19], -v[181:182]
	v_add_f64_e32 v[56:57], v[199:200], v[56:57]
	v_fma_f64 v[199:200], v[155:156], s[18:19], v[181:182]
	s_delay_alu instid0(VALU_DEP_3) | instskip(SKIP_1) | instid1(VALU_DEP_3)
	v_add_f64_e32 v[60:61], v[161:162], v[60:61]
	v_fma_f64 v[161:162], v[159:160], s[10:11], v[183:184]
	v_add_f64_e32 v[58:59], v[199:200], v[58:59]
	v_fma_f64 v[199:200], v[159:160], s[10:11], -v[183:184]
	s_delay_alu instid0(VALU_DEP_3) | instskip(SKIP_1) | instid1(VALU_DEP_3)
	;; [unrolled: 10-line block ×3, first 2 shown]
	v_add_f64_e32 v[62:63], v[161:162], v[62:63]
	v_fma_f64 v[161:162], v[171:172], s[16:17], -v[189:190]
	v_add_f64_e32 v[56:57], v[199:200], v[56:57]
	v_fma_f64 v[199:200], v[171:172], s[16:17], v[189:190]
	s_delay_alu instid0(VALU_DEP_3) | instskip(SKIP_1) | instid1(VALU_DEP_3)
	v_add_f64_e32 v[161:162], v[161:162], v[60:61]
	v_fma_f64 v[60:61], v[175:176], s[14:15], v[191:192]
	v_add_f64_e32 v[58:59], v[199:200], v[58:59]
	v_fma_f64 v[199:200], v[175:176], s[14:15], -v[191:192]
	s_delay_alu instid0(VALU_DEP_3) | instskip(SKIP_4) | instid1(VALU_DEP_1)
	v_add_f64_e32 v[60:61], v[60:61], v[62:63]
	v_add_f64_e32 v[62:63], v[165:166], v[161:162]
	scratch_load_b32 v162, off, off offset:16 ; 4-byte Folded Reload
	v_add_f64_e32 v[56:57], v[199:200], v[56:57]
	v_fma_f64 v[199:200], v[179:180], s[14:15], v[193:194]
	v_add_f64_e32 v[58:59], v[199:200], v[58:59]
	s_wait_loadcnt 0x0
	v_mul_lo_u16 v161, v162, 17
	s_and_saveexec_b32 s24, vcc_lo
	s_cbranch_execz .LBB0_7
; %bb.6:
	v_add_f64_e32 v[74:75], v[74:75], v[22:23]
	v_add_f64_e32 v[72:73], v[72:73], v[20:21]
	s_delay_alu instid0(VALU_DEP_2) | instskip(NEXT) | instid1(VALU_DEP_2)
	v_add_f64_e32 v[74:75], v[82:83], v[74:75]
	v_add_f64_e32 v[72:73], v[80:81], v[72:73]
	v_mul_f64_e32 v[80:81], s[10:11], v[155:156]
	v_mul_f64_e32 v[82:83], s[10:11], v[151:152]
	s_delay_alu instid0(VALU_DEP_4) | instskip(NEXT) | instid1(VALU_DEP_4)
	v_add_f64_e32 v[74:75], v[86:87], v[74:75]
	v_add_f64_e32 v[72:73], v[84:85], v[72:73]
	s_delay_alu instid0(VALU_DEP_4) | instskip(NEXT) | instid1(VALU_DEP_4)
	v_add_f64_e32 v[80:81], v[137:138], v[80:81]
	v_add_f64_e64 v[82:83], v[82:83], -v[117:118]
	v_mul_f64_e32 v[84:85], s[20:21], v[163:164]
	scratch_load_b64 v[86:87], off, off offset:272 th:TH_LOAD_LU ; 8-byte Folded Reload
	v_add_f64_e32 v[74:75], v[94:95], v[74:75]
	v_add_f64_e32 v[72:73], v[92:93], v[72:73]
	;; [unrolled: 1-line block ×3, first 2 shown]
	s_delay_alu instid0(VALU_DEP_3) | instskip(NEXT) | instid1(VALU_DEP_3)
	v_add_f64_e32 v[74:75], v[98:99], v[74:75]
	v_add_f64_e32 v[72:73], v[96:97], v[72:73]
	s_delay_alu instid0(VALU_DEP_2) | instskip(NEXT) | instid1(VALU_DEP_2)
	v_add_f64_e32 v[74:75], v[102:103], v[74:75]
	v_add_f64_e32 v[72:73], v[100:101], v[72:73]
	s_delay_alu instid0(VALU_DEP_2) | instskip(NEXT) | instid1(VALU_DEP_2)
	v_add_f64_e32 v[74:75], v[106:107], v[74:75]
	v_add_f64_e32 v[72:73], v[104:105], v[72:73]
	s_delay_alu instid0(VALU_DEP_2) | instskip(NEXT) | instid1(VALU_DEP_2)
	v_add_f64_e32 v[74:75], v[110:111], v[74:75]
	v_add_f64_e32 v[72:73], v[108:109], v[72:73]
	s_delay_alu instid0(VALU_DEP_2) | instskip(NEXT) | instid1(VALU_DEP_2)
	v_add_f64_e32 v[74:75], v[114:115], v[74:75]
	v_add_f64_e32 v[72:73], v[112:113], v[72:73]
	s_delay_alu instid0(VALU_DEP_2) | instskip(NEXT) | instid1(VALU_DEP_2)
	v_add_f64_e32 v[74:75], v[90:91], v[74:75]
	v_add_f64_e32 v[72:73], v[88:89], v[72:73]
	s_delay_alu instid0(VALU_DEP_2) | instskip(NEXT) | instid1(VALU_DEP_2)
	v_add_f64_e32 v[74:75], v[78:79], v[74:75]
	v_add_f64_e32 v[72:73], v[76:77], v[72:73]
	v_mul_f64_e32 v[76:77], s[0:1], v[139:140]
	v_mul_f64_e32 v[78:79], s[0:1], v[135:136]
	s_delay_alu instid0(VALU_DEP_4) | instskip(NEXT) | instid1(VALU_DEP_4)
	v_add_f64_e32 v[70:71], v[70:71], v[74:75]
	v_add_f64_e32 v[68:69], v[68:69], v[72:73]
	scratch_load_b64 v[72:73], off, off offset:96 th:TH_LOAD_LU ; 8-byte Folded Reload
	v_mul_f64_e32 v[74:75], s[16:17], v[127:128]
	v_add_f64_e32 v[76:77], v[133:134], v[76:77]
	v_add_f64_e64 v[78:79], v[78:79], -v[249:250]
	v_add_f64_e32 v[66:67], v[66:67], v[70:71]
	scratch_load_b64 v[70:71], off, off offset:104 th:TH_LOAD_LU ; 8-byte Folded Reload
	v_add_f64_e32 v[64:65], v[64:65], v[68:69]
	v_mul_f64_e32 v[68:69], s[0:1], v[147:148]
	v_add_f64_e64 v[74:75], v[74:75], -v[247:248]
	v_add_f64_e32 v[34:35], v[66:67], v[34:35]
	v_mul_f64_e32 v[66:67], s[6:7], v[143:144]
	v_add_f64_e32 v[32:33], v[32:33], v[64:65]
	v_mul_f64_e32 v[64:65], s[6:7], v[147:148]
	s_delay_alu instid0(VALU_DEP_4) | instskip(SKIP_1) | instid1(VALU_DEP_4)
	v_add_f64_e32 v[26:27], v[34:35], v[26:27]
	v_mul_f64_e32 v[34:35], s[10:11], v[143:144]
	v_add_f64_e32 v[24:25], v[24:25], v[32:33]
	v_mul_f64_e32 v[32:33], s[10:11], v[147:148]
	v_add_f64_e32 v[64:65], v[239:240], v[64:65]
	v_add_f64_e64 v[66:67], v[66:67], -v[237:238]
	v_add_f64_e32 v[26:27], v[26:27], v[30:31]
	v_mul_f64_e32 v[30:31], s[14:15], v[143:144]
	v_add_f64_e32 v[24:25], v[24:25], v[28:29]
	v_mul_f64_e32 v[28:29], s[14:15], v[147:148]
	v_add_f64_e32 v[32:33], v[243:244], v[32:33]
	v_add_f64_e64 v[34:35], v[34:35], -v[241:242]
	v_add_f64_e32 v[64:65], v[22:23], v[64:65]
	v_add_f64_e32 v[66:67], v[20:21], v[66:67]
	v_add_f64_e64 v[30:31], v[30:31], -v[153:154]
	v_add_f64_e32 v[28:29], v[157:158], v[28:29]
	v_add_f64_e32 v[32:33], v[22:23], v[32:33]
	v_add_f64_e32 v[34:35], v[20:21], v[34:35]
	s_delay_alu instid0(VALU_DEP_4) | instskip(NEXT) | instid1(VALU_DEP_4)
	v_add_f64_e32 v[30:31], v[20:21], v[30:31]
	v_add_f64_e32 v[28:29], v[22:23], v[28:29]
	s_wait_loadcnt 0x0
	v_add_f64_e32 v[68:69], v[70:71], v[68:69]
	v_mul_f64_e32 v[70:71], s[0:1], v[143:144]
	s_delay_alu instid0(VALU_DEP_2) | instskip(NEXT) | instid1(VALU_DEP_2)
	v_add_f64_e32 v[68:69], v[22:23], v[68:69]
	v_add_f64_e64 v[70:71], v[70:71], -v[72:73]
	v_mul_f64_e32 v[22:23], s[22:23], v[119:120]
	v_mul_f64_e32 v[72:73], s[16:17], v[131:132]
	s_delay_alu instid0(VALU_DEP_3) | instskip(SKIP_1) | instid1(VALU_DEP_4)
	v_add_f64_e32 v[70:71], v[20:21], v[70:71]
	v_mul_f64_e32 v[20:21], s[22:23], v[123:124]
	v_add_f64_e64 v[22:23], v[22:23], -v[245:246]
	s_delay_alu instid0(VALU_DEP_4) | instskip(NEXT) | instid1(VALU_DEP_3)
	v_add_f64_e32 v[72:73], v[129:130], v[72:73]
	v_add_f64_e32 v[20:21], v[253:254], v[20:21]
	s_delay_alu instid0(VALU_DEP_3) | instskip(SKIP_1) | instid1(VALU_DEP_3)
	v_add_f64_e32 v[22:23], v[22:23], v[30:31]
	v_mul_f64_e32 v[30:31], s[18:19], v[171:172]
	v_add_f64_e32 v[20:21], v[20:21], v[28:29]
	s_delay_alu instid0(VALU_DEP_3) | instskip(SKIP_1) | instid1(VALU_DEP_4)
	v_add_f64_e32 v[22:23], v[74:75], v[22:23]
	v_mul_f64_e32 v[28:29], s[20:21], v[159:160]
	v_add_f64_e32 v[30:31], v[149:150], v[30:31]
	v_mul_f64_e32 v[74:75], s[6:7], v[179:180]
	v_add_f64_e32 v[20:21], v[72:73], v[20:21]
	v_add_f64_e32 v[22:23], v[78:79], v[22:23]
	v_add_f64_e64 v[28:29], v[28:29], -v[121:122]
	v_mul_f64_e32 v[72:73], s[18:19], v[167:168]
	v_add_f64_e32 v[74:75], v[141:142], v[74:75]
	scratch_load_b64 v[78:79], off, off offset:224 th:TH_LOAD_LU ; 8-byte Folded Reload
	v_add_f64_e32 v[20:21], v[76:77], v[20:21]
	v_add_f64_e32 v[22:23], v[82:83], v[22:23]
	scratch_load_b64 v[82:83], off, off offset:264 th:TH_LOAD_LU ; 8-byte Folded Reload
	v_add_f64_e64 v[72:73], v[72:73], -v[125:126]
	scratch_load_b64 v[76:77], off, off offset:184 th:TH_LOAD_LU ; 8-byte Folded Reload
	v_add_f64_e32 v[20:21], v[80:81], v[20:21]
	scratch_load_b64 v[80:81], off, off offset:192 th:TH_LOAD_LU ; 8-byte Folded Reload
	v_add_f64_e32 v[22:23], v[28:29], v[22:23]
	v_mul_f64_e32 v[28:29], s[6:7], v[175:176]
	v_add_f64_e32 v[20:21], v[84:85], v[20:21]
	s_delay_alu instid0(VALU_DEP_2) | instskip(NEXT) | instid1(VALU_DEP_2)
	v_add_f64_e64 v[28:29], v[28:29], -v[251:252]
	v_add_f64_e32 v[20:21], v[30:31], v[20:21]
	v_add_f64_e32 v[30:31], v[72:73], v[22:23]
	scratch_load_b64 v[72:73], off, off offset:176 th:TH_LOAD_LU ; 8-byte Folded Reload
	v_add_f64_e32 v[22:23], v[74:75], v[20:21]
	v_add_f64_e32 v[20:21], v[28:29], v[30:31]
	s_clause 0x1
	scratch_load_b64 v[30:31], off, off offset:200 th:TH_LOAD_LU
	scratch_load_b64 v[74:75], off, off offset:208 th:TH_LOAD_LU
	v_mul_f64_e32 v[28:29], s[14:15], v[123:124]
	s_wait_loadcnt 0x1
	s_delay_alu instid0(VALU_DEP_1) | instskip(SKIP_1) | instid1(VALU_DEP_2)
	v_add_f64_e32 v[28:29], v[30:31], v[28:29]
	v_mul_f64_e32 v[30:31], s[14:15], v[119:120]
	v_add_f64_e32 v[28:29], v[28:29], v[64:65]
	s_delay_alu instid0(VALU_DEP_2) | instskip(SKIP_2) | instid1(VALU_DEP_3)
	v_add_f64_e64 v[30:31], v[30:31], -v[72:73]
	v_mul_f64_e32 v[72:73], s[18:19], v[131:132]
	v_mul_f64_e32 v[64:65], s[16:17], v[159:160]
	v_add_f64_e32 v[30:31], v[30:31], v[66:67]
	s_clause 0x1
	scratch_load_b64 v[66:67], off, off offset:232 th:TH_LOAD_LU
	scratch_load_b64 v[84:85], off, off offset:216 th:TH_LOAD_LU
	s_wait_loadcnt 0x2
	v_add_f64_e32 v[72:73], v[74:75], v[72:73]
	v_mul_f64_e32 v[74:75], s[18:19], v[127:128]
	s_delay_alu instid0(VALU_DEP_2) | instskip(NEXT) | instid1(VALU_DEP_2)
	v_add_f64_e32 v[28:29], v[72:73], v[28:29]
	v_add_f64_e64 v[74:75], v[74:75], -v[76:77]
	v_mul_f64_e32 v[76:77], s[22:23], v[139:140]
	scratch_load_b64 v[72:73], off, off offset:280 th:TH_LOAD_LU ; 8-byte Folded Reload
	v_add_f64_e32 v[30:31], v[74:75], v[30:31]
	v_add_f64_e32 v[76:77], v[78:79], v[76:77]
	v_mul_f64_e32 v[78:79], s[22:23], v[135:136]
	s_delay_alu instid0(VALU_DEP_2)
	v_add_f64_e32 v[28:29], v[76:77], v[28:29]
	s_clause 0x1
	scratch_load_b64 v[76:77], off, off offset:288 th:TH_LOAD_LU
	scratch_load_b64 v[74:75], off, off offset:240 th:TH_LOAD_LU
	v_add_f64_e64 v[78:79], v[78:79], -v[80:81]
	v_mul_f64_e32 v[80:81], s[20:21], v[155:156]
	s_delay_alu instid0(VALU_DEP_2) | instskip(NEXT) | instid1(VALU_DEP_2)
	v_add_f64_e32 v[30:31], v[78:79], v[30:31]
	v_add_f64_e32 v[80:81], v[82:83], v[80:81]
	v_mul_f64_e32 v[82:83], s[20:21], v[151:152]
	v_mul_f64_e32 v[78:79], s[16:17], v[135:136]
	s_delay_alu instid0(VALU_DEP_3)
	v_add_f64_e32 v[28:29], v[80:81], v[28:29]
	scratch_load_b64 v[80:81], off, off offset:312 th:TH_LOAD_LU ; 8-byte Folded Reload
	s_wait_loadcnt 0x5
	v_add_f64_e64 v[64:65], v[64:65], -v[66:67]
	v_mul_f64_e32 v[66:67], s[10:11], v[171:172]
	s_wait_loadcnt 0x4
	v_add_f64_e64 v[82:83], v[82:83], -v[84:85]
	v_mul_f64_e32 v[84:85], s[16:17], v[163:164]
	s_delay_alu instid0(VALU_DEP_2) | instskip(NEXT) | instid1(VALU_DEP_2)
	v_add_f64_e32 v[30:31], v[82:83], v[30:31]
	v_add_f64_e32 v[84:85], v[86:87], v[84:85]
	v_mul_f64_e32 v[82:83], s[6:7], v[151:152]
	s_wait_loadcnt 0x3
	v_add_f64_e32 v[66:67], v[72:73], v[66:67]
	v_mul_f64_e32 v[72:73], s[10:11], v[167:168]
	scratch_load_b64 v[86:87], off, off offset:136 th:TH_LOAD_LU ; 8-byte Folded Reload
	v_add_f64_e32 v[30:31], v[64:65], v[30:31]
	v_add_f64_e32 v[28:29], v[84:85], v[28:29]
	v_mul_f64_e32 v[64:65], s[0:1], v[175:176]
	scratch_load_b64 v[84:85], off, off offset:344 th:TH_LOAD_LU ; 8-byte Folded Reload
	v_add_f64_e32 v[28:29], v[66:67], v[28:29]
	s_wait_loadcnt 0x3
	v_add_f64_e64 v[72:73], v[72:73], -v[74:75]
	v_mul_f64_e32 v[74:75], s[0:1], v[179:180]
	s_delay_alu instid0(VALU_DEP_2) | instskip(NEXT) | instid1(VALU_DEP_2)
	v_add_f64_e32 v[66:67], v[72:73], v[30:31]
	v_add_f64_e32 v[74:75], v[76:77], v[74:75]
	s_clause 0x1
	scratch_load_b64 v[76:77], off, off offset:248 th:TH_LOAD_LU
	scratch_load_b64 v[72:73], off, off offset:256 th:TH_LOAD_LU
	v_add_f64_e32 v[30:31], v[74:75], v[28:29]
	scratch_load_b64 v[74:75], off, off offset:336 th:TH_LOAD_LU ; 8-byte Folded Reload
	s_wait_loadcnt 0x5
	v_add_f64_e64 v[78:79], v[78:79], -v[80:81]
	v_mul_f64_e32 v[80:81], s[6:7], v[155:156]
	s_delay_alu instid0(VALU_DEP_1) | instskip(SKIP_3) | instid1(VALU_DEP_1)
	v_add_f64_e32 v[80:81], v[231:232], v[80:81]
	s_wait_loadcnt 0x3
	v_add_f64_e64 v[82:83], v[82:83], -v[84:85]
	v_mul_f64_e32 v[84:85], s[0:1], v[163:164]
	v_add_f64_e32 v[84:85], v[235:236], v[84:85]
	s_wait_loadcnt 0x2
	v_add_f64_e64 v[64:65], v[64:65], -v[76:77]
	scratch_load_b64 v[76:77], off, off offset:296 th:TH_LOAD_LU ; 8-byte Folded Reload
	v_add_f64_e32 v[28:29], v[64:65], v[66:67]
	scratch_load_b64 v[66:67], off, off offset:304 th:TH_LOAD_LU ; 8-byte Folded Reload
	v_mul_f64_e32 v[64:65], s[18:19], v[123:124]
	s_wait_loadcnt 0x0
	s_delay_alu instid0(VALU_DEP_1) | instskip(SKIP_1) | instid1(VALU_DEP_2)
	v_add_f64_e32 v[64:65], v[66:67], v[64:65]
	v_mul_f64_e32 v[66:67], s[18:19], v[119:120]
	v_add_f64_e32 v[32:33], v[64:65], v[32:33]
	s_delay_alu instid0(VALU_DEP_2) | instskip(SKIP_2) | instid1(VALU_DEP_3)
	v_add_f64_e64 v[66:67], v[66:67], -v[72:73]
	v_mul_f64_e32 v[72:73], s[22:23], v[131:132]
	v_mul_f64_e32 v[64:65], s[0:1], v[159:160]
	v_add_f64_e32 v[34:35], v[66:67], v[34:35]
	s_delay_alu instid0(VALU_DEP_3) | instskip(SKIP_1) | instid1(VALU_DEP_4)
	v_add_f64_e32 v[72:73], v[74:75], v[72:73]
	v_mul_f64_e32 v[74:75], s[22:23], v[127:128]
	v_add_f64_e64 v[64:65], v[64:65], -v[225:226]
	v_mul_f64_e32 v[66:67], s[14:15], v[171:172]
	s_delay_alu instid0(VALU_DEP_4) | instskip(NEXT) | instid1(VALU_DEP_4)
	v_add_f64_e32 v[32:33], v[72:73], v[32:33]
	v_add_f64_e64 v[74:75], v[74:75], -v[76:77]
	v_mul_f64_e32 v[76:77], s[16:17], v[139:140]
	v_mul_f64_e32 v[72:73], s[14:15], v[167:168]
	v_add_f64_e32 v[66:67], v[233:234], v[66:67]
	s_delay_alu instid0(VALU_DEP_4) | instskip(NEXT) | instid1(VALU_DEP_4)
	v_add_f64_e32 v[34:35], v[74:75], v[34:35]
	v_add_f64_e32 v[76:77], v[227:228], v[76:77]
	scratch_load_b64 v[74:75], off, off offset:328 th:TH_LOAD_LU ; 8-byte Folded Reload
	v_add_f64_e32 v[34:35], v[78:79], v[34:35]
	v_add_f64_e32 v[32:33], v[76:77], v[32:33]
	s_clause 0x1
	scratch_load_b64 v[76:77], off, off offset:320 th:TH_LOAD_LU
	scratch_load_b64 v[78:79], off, off offset:88 th:TH_LOAD_LU
	v_add_f64_e32 v[34:35], v[82:83], v[34:35]
	v_add_f64_e32 v[32:33], v[80:81], v[32:33]
	scratch_load_b64 v[82:83], off, off offset:120 th:TH_LOAD_LU ; 8-byte Folded Reload
	v_add_f64_e32 v[34:35], v[64:65], v[34:35]
	v_add_f64_e32 v[32:33], v[84:85], v[32:33]
	scratch_load_b64 v[84:85], off, off offset:112 th:TH_LOAD_LU ; 8-byte Folded Reload
	v_mul_f64_e32 v[64:65], s[20:21], v[175:176]
	scratch_load_b64 v[80:81], off, off offset:80 th:TH_LOAD_LU ; 8-byte Folded Reload
	v_add_f64_e32 v[32:33], v[66:67], v[32:33]
	s_wait_loadcnt 0x5
	v_add_f64_e64 v[72:73], v[72:73], -v[74:75]
	v_mul_f64_e32 v[74:75], s[20:21], v[179:180]
	s_wait_loadcnt 0x4
	v_add_f64_e64 v[64:65], v[64:65], -v[76:77]
	s_delay_alu instid0(VALU_DEP_2) | instskip(NEXT) | instid1(VALU_DEP_4)
	v_add_f64_e32 v[74:75], v[229:230], v[74:75]
	v_add_f64_e32 v[66:67], v[72:73], v[34:35]
	s_clause 0x1
	scratch_load_b64 v[76:77], off, off offset:56 th:TH_LOAD_LU
	scratch_load_b64 v[72:73], off, off offset:24 th:TH_LOAD_LU
	v_add_f64_e32 v[34:35], v[74:75], v[32:33]
	v_add_f64_e32 v[32:33], v[64:65], v[66:67]
	s_clause 0x1
	scratch_load_b64 v[66:67], off, off offset:40 th:TH_LOAD_LU
	scratch_load_b64 v[74:75], off, off offset:72 th:TH_LOAD_LU
	v_mul_f64_e32 v[64:65], s[6:7], v[123:124]
	s_wait_loadcnt 0x1
	s_delay_alu instid0(VALU_DEP_1) | instskip(SKIP_1) | instid1(VALU_DEP_2)
	v_add_f64_e32 v[64:65], v[66:67], v[64:65]
	v_mul_f64_e32 v[66:67], s[6:7], v[119:120]
	v_add_f64_e32 v[64:65], v[64:65], v[68:69]
	s_delay_alu instid0(VALU_DEP_2) | instskip(SKIP_2) | instid1(VALU_DEP_3)
	v_add_f64_e64 v[66:67], v[66:67], -v[72:73]
	v_mul_f64_e32 v[72:73], s[10:11], v[131:132]
	v_mul_f64_e32 v[68:69], s[18:19], v[159:160]
	v_add_f64_e32 v[66:67], v[66:67], v[70:71]
	s_wait_loadcnt 0x0
	s_delay_alu instid0(VALU_DEP_3) | instskip(SKIP_1) | instid1(VALU_DEP_2)
	v_add_f64_e32 v[72:73], v[74:75], v[72:73]
	v_mul_f64_e32 v[74:75], s[10:11], v[127:128]
	v_add_f64_e32 v[64:65], v[72:73], v[64:65]
	s_delay_alu instid0(VALU_DEP_2)
	v_add_f64_e64 v[74:75], v[74:75], -v[76:77]
	scratch_load_b64 v[72:73], off, off offset:152 th:TH_LOAD_LU ; 8-byte Folded Reload
	v_mul_f64_e32 v[76:77], s[14:15], v[139:140]
	v_add_f64_e32 v[66:67], v[74:75], v[66:67]
	s_clause 0x1
	scratch_load_b64 v[74:75], off, off offset:144 th:TH_LOAD_LU
	scratch_load_b64 v[70:71], off, off offset:128 th:TH_LOAD_LU
	v_add_f64_e32 v[76:77], v[78:79], v[76:77]
	v_mul_f64_e32 v[78:79], s[14:15], v[135:136]
	s_delay_alu instid0(VALU_DEP_2) | instskip(SKIP_3) | instid1(VALU_DEP_2)
	v_add_f64_e32 v[64:65], v[76:77], v[64:65]
	scratch_load_b64 v[76:77], off, off offset:168 th:TH_LOAD_LU ; 8-byte Folded Reload
	v_add_f64_e64 v[78:79], v[78:79], -v[80:81]
	v_mul_f64_e32 v[80:81], s[16:17], v[155:156]
	v_add_f64_e32 v[66:67], v[78:79], v[66:67]
	s_delay_alu instid0(VALU_DEP_2) | instskip(SKIP_1) | instid1(VALU_DEP_2)
	v_add_f64_e32 v[80:81], v[82:83], v[80:81]
	v_mul_f64_e32 v[82:83], s[16:17], v[151:152]
	v_add_f64_e32 v[64:65], v[80:81], v[64:65]
	s_delay_alu instid0(VALU_DEP_2) | instskip(SKIP_1) | instid1(VALU_DEP_2)
	v_add_f64_e64 v[82:83], v[82:83], -v[84:85]
	v_mul_f64_e32 v[84:85], s[18:19], v[163:164]
	v_add_f64_e32 v[66:67], v[82:83], v[66:67]
	s_delay_alu instid0(VALU_DEP_2) | instskip(NEXT) | instid1(VALU_DEP_1)
	v_add_f64_e32 v[84:85], v[86:87], v[84:85]
	v_add_f64_e32 v[64:65], v[84:85], v[64:65]
	s_wait_loadcnt 0x1
	v_add_f64_e64 v[68:69], v[68:69], -v[70:71]
	v_mul_f64_e32 v[70:71], s[20:21], v[171:172]
	s_delay_alu instid0(VALU_DEP_2) | instskip(NEXT) | instid1(VALU_DEP_2)
	v_add_f64_e32 v[66:67], v[68:69], v[66:67]
	v_add_f64_e32 v[70:71], v[72:73], v[70:71]
	v_mul_f64_e32 v[72:73], s[20:21], v[167:168]
	v_mul_f64_e32 v[68:69], s[22:23], v[175:176]
	s_delay_alu instid0(VALU_DEP_3) | instskip(NEXT) | instid1(VALU_DEP_3)
	v_add_f64_e32 v[64:65], v[70:71], v[64:65]
	v_add_f64_e64 v[72:73], v[72:73], -v[74:75]
	v_mul_f64_e32 v[74:75], s[22:23], v[179:180]
	s_delay_alu instid0(VALU_DEP_2) | instskip(SKIP_1) | instid1(VALU_DEP_2)
	v_add_f64_e32 v[70:71], v[72:73], v[66:67]
	s_wait_loadcnt 0x0
	v_add_f64_e32 v[74:75], v[76:77], v[74:75]
	scratch_load_b64 v[76:77], off, off offset:160 th:TH_LOAD_LU ; 8-byte Folded Reload
	v_add_f64_e32 v[66:67], v[74:75], v[64:65]
	s_wait_loadcnt 0x0
	v_add_f64_e64 v[68:69], v[68:69], -v[76:77]
	s_delay_alu instid0(VALU_DEP_1) | instskip(SKIP_3) | instid1(VALU_DEP_1)
	v_add_f64_e32 v[64:65], v[68:69], v[70:71]
	scratch_load_b32 v69, off, off          ; 4-byte Folded Reload
	v_and_b32_e32 v68, 0xffff, v161
	s_wait_loadcnt 0x0
	v_add_lshl_u32 v68, v69, v68, 4
	ds_store_b128 v68, v[28:31] offset:32
	ds_store_b128 v68, v[32:35] offset:48
	;; [unrolled: 1-line block ×4, first 2 shown]
	ds_store_b128 v68, v[24:27]
	ds_store_b128 v68, v[40:43] offset:96
	ds_store_b128 v68, v[48:51] offset:112
	ds_store_b128 v68, v[56:59] offset:128
	ds_store_b128 v68, v[60:63] offset:144
	ds_store_b128 v68, v[52:55] offset:160
	ds_store_b128 v68, v[44:47] offset:176
	ds_store_b128 v68, v[36:39] offset:192
	ds_store_b128 v68, v[12:15] offset:208
	ds_store_b128 v68, v[8:11] offset:224
	ds_store_b128 v68, v[4:7] offset:240
	ds_store_b128 v68, v[16:19] offset:80
	ds_store_b128 v68, v[0:3] offset:256
.LBB0_7:
	s_wait_alu 0xfffe
	s_or_b32 exec_lo, exec_lo, s24
	v_lshlrev_b32_e32 v20, 6, v162
	s_load_b128 s[0:3], s[2:3], 0x0
	global_wb scope:SCOPE_SE
	s_wait_dscnt 0x0
	s_wait_kmcnt 0x0
	s_barrier_signal -1
	s_barrier_wait -1
	global_inv scope:SCOPE_SE
	s_clause 0x3
	global_load_b128 v[171:174], v20, s[4:5]
	global_load_b128 v[32:35], v20, s[4:5] offset:16
	global_load_b128 v[200:203], v20, s[4:5] offset:32
	;; [unrolled: 1-line block ×3, first 2 shown]
	scratch_load_b32 v20, off, off          ; 4-byte Folded Reload
	s_mov_b32 s4, 0x134454ff
	s_mov_b32 s5, 0x3fee6f0e
	;; [unrolled: 1-line block ×3, first 2 shown]
	s_wait_alu 0xfffe
	s_mov_b32 s6, s4
	s_wait_loadcnt 0x0
	v_add_lshl_u32 v98, v20, v162, 4
	ds_load_b128 v[64:67], v98 offset:272
	ds_load_b128 v[68:71], v98 offset:544
	;; [unrolled: 1-line block ×4, first 2 shown]
	scratch_load_b32 v20, off, off offset:4 ; 4-byte Folded Reload
	s_wait_dscnt 0x3
	v_mul_f64_e32 v[80:81], v[66:67], v[173:174]
	s_wait_dscnt 0x2
	v_mul_f64_e32 v[82:83], v[70:71], v[34:35]
	;; [unrolled: 2-line block ×3, first 2 shown]
	v_mul_f64_e32 v[86:87], v[64:65], v[173:174]
	s_wait_dscnt 0x0
	v_mul_f64_e32 v[88:89], v[78:79], v[169:170]
	v_mul_f64_e32 v[90:91], v[68:69], v[34:35]
	;; [unrolled: 1-line block ×4, first 2 shown]
	v_fma_f64 v[80:81], v[64:65], v[171:172], -v[80:81]
	v_fma_f64 v[68:69], v[68:69], v[32:33], -v[82:83]
	v_fma_f64 v[72:73], v[72:73], v[200:201], -v[84:85]
	v_fma_f64 v[82:83], v[66:67], v[171:172], v[86:87]
	v_fma_f64 v[76:77], v[76:77], v[167:168], -v[88:89]
	v_fma_f64 v[70:71], v[70:71], v[32:33], v[90:91]
	v_fma_f64 v[74:75], v[74:75], v[200:201], v[92:93]
	;; [unrolled: 1-line block ×3, first 2 shown]
	ds_load_b128 v[64:67], v98
	s_wait_dscnt 0x0
	v_add_f64_e32 v[92:93], v[64:65], v[80:81]
	v_add_f64_e32 v[84:85], v[68:69], v[72:73]
	;; [unrolled: 1-line block ×4, first 2 shown]
	v_add_f64_e64 v[101:102], v[80:81], -v[76:77]
	v_add_f64_e32 v[88:89], v[70:71], v[74:75]
	v_add_f64_e32 v[90:91], v[82:83], v[78:79]
	v_add_f64_e64 v[94:95], v[82:83], -v[78:79]
	v_add_f64_e64 v[96:97], v[70:71], -v[74:75]
	;; [unrolled: 1-line block ×8, first 2 shown]
	v_fma_f64 v[84:85], v[84:85], -0.5, v[64:65]
	v_add_f64_e32 v[70:71], v[99:100], v[70:71]
	v_fma_f64 v[64:65], v[86:87], -0.5, v[64:65]
	v_add_f64_e64 v[86:87], v[68:69], -v[72:73]
	v_fma_f64 v[88:89], v[88:89], -0.5, v[66:67]
	v_fma_f64 v[66:67], v[90:91], -0.5, v[66:67]
	v_add_f64_e64 v[90:91], v[80:81], -v[68:69]
	v_add_f64_e64 v[80:81], v[68:69], -v[80:81]
	v_add_f64_e32 v[68:69], v[92:93], v[68:69]
	v_add_f64_e32 v[82:83], v[82:83], v[111:112]
	v_fma_f64 v[92:93], v[94:95], s[4:5], v[84:85]
	s_wait_alu 0xfffe
	v_fma_f64 v[84:85], v[94:95], s[6:7], v[84:85]
	v_fma_f64 v[99:100], v[96:97], s[6:7], v[64:65]
	;; [unrolled: 1-line block ×7, first 2 shown]
	s_mov_b32 s4, 0x4755a5e
	s_mov_b32 s5, 0x3fe2cf23
	;; [unrolled: 1-line block ×3, first 2 shown]
	s_wait_alu 0xfffe
	s_mov_b32 s6, s4
	v_add_f64_e32 v[90:91], v[90:91], v[103:104]
	v_add_f64_e32 v[103:104], v[80:81], v[105:106]
	;; [unrolled: 1-line block ×5, first 2 shown]
	v_fma_f64 v[72:73], v[96:97], s[4:5], v[92:93]
	s_wait_alu 0xfffe
	v_fma_f64 v[74:75], v[96:97], s[6:7], v[84:85]
	v_fma_f64 v[84:85], v[94:95], s[4:5], v[99:100]
	;; [unrolled: 1-line block ×7, first 2 shown]
	s_mov_b32 s4, 0x372fe950
	s_mov_b32 s5, 0x3fd3c6ef
	v_add_f64_e32 v[64:65], v[68:69], v[76:77]
	v_add_f64_e32 v[66:67], v[70:71], v[78:79]
	s_wait_alu 0xfffe
	v_fma_f64 v[68:69], v[90:91], s[4:5], v[72:73]
	v_fma_f64 v[80:81], v[90:91], s[4:5], v[74:75]
	;; [unrolled: 1-line block ×8, first 2 shown]
	s_wait_loadcnt 0x0
	v_lshl_add_u32 v99, v162, 4, v20
	ds_store_b128 v99, v[64:67]
	ds_store_b128 v99, v[68:71] offset:272
	ds_store_b128 v99, v[72:75] offset:544
	;; [unrolled: 1-line block ×4, first 2 shown]
	global_wb scope:SCOPE_SE
	s_wait_dscnt 0x0
	s_barrier_signal -1
	s_barrier_wait -1
	global_inv scope:SCOPE_SE
	s_and_saveexec_b32 s6, vcc_lo
	s_cbranch_execz .LBB0_9
; %bb.8:
	global_load_b128 v[84:87], v116, s[8:9] offset:1360
	s_add_nc_u64 s[4:5], s[8:9], 0x550
	s_clause 0x3
	global_load_b128 v[88:91], v116, s[4:5] offset:80
	global_load_b128 v[92:95], v116, s[4:5] offset:160
	;; [unrolled: 1-line block ×4, first 2 shown]
	ds_load_b128 v[108:111], v99
	ds_load_b128 v[112:115], v99 offset:80
	ds_load_b128 v[117:120], v99 offset:160
	global_load_b128 v[121:124], v116, s[4:5] offset:400
	s_wait_loadcnt_dscnt 0x401
	v_mul_f64_e32 v[125:126], v[114:115], v[90:91]
	v_mul_f64_e32 v[96:97], v[110:111], v[86:87]
	;; [unrolled: 1-line block ×4, first 2 shown]
	s_delay_alu instid0(VALU_DEP_4) | instskip(NEXT) | instid1(VALU_DEP_4)
	v_fma_f64 v[112:113], v[112:113], v[88:89], -v[125:126]
	v_fma_f64 v[108:109], v[108:109], v[84:85], -v[96:97]
	s_delay_alu instid0(VALU_DEP_4)
	v_fma_f64 v[110:111], v[110:111], v[84:85], v[86:87]
	ds_load_b128 v[84:87], v99 offset:240
	v_fma_f64 v[114:115], v[114:115], v[88:89], v[90:91]
	s_wait_loadcnt_dscnt 0x301
	v_mul_f64_e32 v[88:89], v[119:120], v[94:95]
	v_mul_f64_e32 v[90:91], v[117:118], v[94:95]
	s_wait_loadcnt_dscnt 0x200
	v_mul_f64_e32 v[96:97], v[86:87], v[102:103]
	v_mul_f64_e32 v[102:103], v[84:85], v[102:103]
	s_delay_alu instid0(VALU_DEP_4) | instskip(NEXT) | instid1(VALU_DEP_4)
	v_fma_f64 v[88:89], v[117:118], v[92:93], -v[88:89]
	v_fma_f64 v[90:91], v[119:120], v[92:93], v[90:91]
	ds_load_b128 v[92:95], v99 offset:320
	ds_load_b128 v[117:120], v99 offset:400
	v_fma_f64 v[84:85], v[84:85], v[100:101], -v[96:97]
	v_fma_f64 v[86:87], v[86:87], v[100:101], v[102:103]
	global_load_b128 v[100:103], v116, s[4:5] offset:480
	s_wait_loadcnt_dscnt 0x201
	v_mul_f64_e32 v[96:97], v[94:95], v[106:107]
	v_mul_f64_e32 v[106:107], v[92:93], v[106:107]
	s_delay_alu instid0(VALU_DEP_2) | instskip(NEXT) | instid1(VALU_DEP_2)
	v_fma_f64 v[92:93], v[92:93], v[104:105], -v[96:97]
	v_fma_f64 v[94:95], v[94:95], v[104:105], v[106:107]
	global_load_b128 v[104:107], v116, s[4:5] offset:560
	s_wait_loadcnt_dscnt 0x200
	v_mul_f64_e32 v[96:97], v[119:120], v[123:124]
	v_mul_f64_e32 v[123:124], v[117:118], v[123:124]
	s_delay_alu instid0(VALU_DEP_2) | instskip(NEXT) | instid1(VALU_DEP_2)
	v_fma_f64 v[117:118], v[117:118], v[121:122], -v[96:97]
	v_fma_f64 v[119:120], v[119:120], v[121:122], v[123:124]
	ds_load_b128 v[121:124], v99 offset:480
	ds_load_b128 v[125:128], v99 offset:560
	s_wait_loadcnt_dscnt 0x101
	v_mul_f64_e32 v[96:97], v[123:124], v[102:103]
	v_mul_f64_e32 v[102:103], v[121:122], v[102:103]
	s_delay_alu instid0(VALU_DEP_2) | instskip(NEXT) | instid1(VALU_DEP_2)
	v_fma_f64 v[121:122], v[121:122], v[100:101], -v[96:97]
	v_fma_f64 v[123:124], v[123:124], v[100:101], v[102:103]
	s_wait_loadcnt_dscnt 0x0
	v_mul_f64_e32 v[96:97], v[127:128], v[106:107]
	v_mul_f64_e32 v[102:103], v[125:126], v[106:107]
	s_delay_alu instid0(VALU_DEP_2) | instskip(NEXT) | instid1(VALU_DEP_2)
	v_fma_f64 v[100:101], v[125:126], v[104:105], -v[96:97]
	v_fma_f64 v[102:103], v[127:128], v[104:105], v[102:103]
	s_clause 0x1
	global_load_b128 v[104:107], v116, s[4:5] offset:640
	global_load_b128 v[125:128], v116, s[4:5] offset:720
	ds_load_b128 v[129:132], v99 offset:640
	ds_load_b128 v[133:136], v99 offset:720
	s_wait_loadcnt_dscnt 0x101
	v_mul_f64_e32 v[96:97], v[131:132], v[106:107]
	v_mul_f64_e32 v[106:107], v[129:130], v[106:107]
	s_delay_alu instid0(VALU_DEP_2) | instskip(NEXT) | instid1(VALU_DEP_2)
	v_fma_f64 v[129:130], v[129:130], v[104:105], -v[96:97]
	v_fma_f64 v[131:132], v[131:132], v[104:105], v[106:107]
	s_wait_loadcnt_dscnt 0x0
	v_mul_f64_e32 v[96:97], v[135:136], v[127:128]
	v_mul_f64_e32 v[106:107], v[133:134], v[127:128]
	s_delay_alu instid0(VALU_DEP_2) | instskip(NEXT) | instid1(VALU_DEP_2)
	v_fma_f64 v[104:105], v[133:134], v[125:126], -v[96:97]
	v_fma_f64 v[106:107], v[135:136], v[125:126], v[106:107]
	s_clause 0x1
	global_load_b128 v[125:128], v116, s[4:5] offset:800
	global_load_b128 v[133:136], v116, s[4:5] offset:880
	;; [unrolled: 17-line block ×4, first 2 shown]
	ds_load_b128 v[153:156], v99 offset:1120
	ds_load_b128 v[157:160], v99 offset:1200
	s_wait_loadcnt_dscnt 0x101
	v_mul_f64_e32 v[96:97], v[155:156], v[143:144]
	v_mul_f64_e32 v[143:144], v[153:154], v[143:144]
	s_delay_alu instid0(VALU_DEP_2) | instskip(NEXT) | instid1(VALU_DEP_2)
	v_fma_f64 v[153:154], v[153:154], v[141:142], -v[96:97]
	v_fma_f64 v[155:156], v[155:156], v[141:142], v[143:144]
	s_wait_loadcnt_dscnt 0x0
	v_mul_f64_e32 v[96:97], v[159:160], v[151:152]
	v_mul_f64_e32 v[143:144], v[157:158], v[151:152]
	s_delay_alu instid0(VALU_DEP_2) | instskip(NEXT) | instid1(VALU_DEP_2)
	v_fma_f64 v[141:142], v[157:158], v[149:150], -v[96:97]
	v_fma_f64 v[143:144], v[159:160], v[149:150], v[143:144]
	global_load_b128 v[149:152], v116, s[4:5] offset:1280
	ds_load_b128 v[157:160], v99 offset:1280
	s_wait_loadcnt_dscnt 0x0
	v_mul_f64_e32 v[96:97], v[159:160], v[151:152]
	v_mul_f64_e32 v[151:152], v[157:158], v[151:152]
	s_delay_alu instid0(VALU_DEP_2) | instskip(NEXT) | instid1(VALU_DEP_2)
	v_fma_f64 v[157:158], v[157:158], v[149:150], -v[96:97]
	v_fma_f64 v[159:160], v[159:160], v[149:150], v[151:152]
	ds_store_b128 v99, v[108:111]
	ds_store_b128 v99, v[112:115] offset:80
	ds_store_b128 v99, v[88:91] offset:160
	;; [unrolled: 1-line block ×16, first 2 shown]
.LBB0_9:
	s_wait_alu 0xfffe
	s_or_b32 exec_lo, exec_lo, s6
	global_wb scope:SCOPE_SE
	s_wait_dscnt 0x0
	s_barrier_signal -1
	s_barrier_wait -1
	global_inv scope:SCOPE_SE
	s_and_saveexec_b32 s4, vcc_lo
	s_cbranch_execz .LBB0_11
; %bb.10:
	ds_load_b128 v[64:67], v99
	ds_load_b128 v[68:71], v99 offset:80
	ds_load_b128 v[72:75], v99 offset:160
	;; [unrolled: 1-line block ×16, first 2 shown]
.LBB0_11:
	s_wait_alu 0xfffe
	s_or_b32 exec_lo, exec_lo, s4
	global_wb scope:SCOPE_SE
	s_wait_dscnt 0x0
	s_barrier_signal -1
	s_barrier_wait -1
	global_inv scope:SCOPE_SE
	s_and_saveexec_b32 s33, vcc_lo
	s_cbranch_execz .LBB0_13
; %bb.12:
	v_add_f64_e32 v[84:85], v[70:71], v[66:67]
	v_add_f64_e32 v[86:87], v[68:69], v[64:65]
	v_add_f64_e64 v[88:89], v[58:59], -v[62:63]
	v_add_f64_e64 v[94:95], v[80:81], -v[12:13]
	s_mov_b32 s24, 0x6c9a05f6
	s_mov_b32 s25, 0xbfe9895b
	v_add_f64_e64 v[96:97], v[72:73], -v[4:5]
	s_mov_b32 s46, 0x923c349f
	s_mov_b32 s10, 0x6ed5f1bb
	;; [unrolled: 1-line block ×9, first 2 shown]
	s_wait_alu 0xfffe
	s_mov_b32 s42, s26
	s_mov_b32 s16, 0x3259b75e
	s_mov_b32 s17, 0x3fb79ee6
	s_mov_b32 s44, 0x7c9e640b
	s_mov_b32 s45, 0x3feca52d
	s_mov_b32 s37, 0xbfeca52d
	s_wait_alu 0xfffe
	s_mov_b32 s36, s44
	s_mov_b32 s18, 0x2b2883cd
	s_mov_b32 s19, 0x3fdc86fa
	s_mov_b32 s34, 0x2a9d6da3
	s_mov_b32 s35, 0x3fe58eea
	s_mov_b32 s49, 0xbfe58eea
	;; [unrolled: 7-line block ×3, first 2 shown]
	s_mov_b32 s41, 0x3fd71e95
	s_mov_b32 s29, 0xbfd71e95
	s_wait_alu 0xfffe
	s_mov_b32 s28, s40
	s_mov_b32 s6, 0x910ea3b9
	v_add_f64_e32 v[84:85], v[74:75], v[84:85]
	v_add_f64_e32 v[86:87], v[72:73], v[86:87]
	;; [unrolled: 1-line block ×3, first 2 shown]
	s_mov_b32 s4, 0x7faef3
	s_mov_b32 s22, 0x370991
	;; [unrolled: 1-line block ×5, first 2 shown]
	v_dual_mov_b32 v154, v35 :: v_dual_mov_b32 v153, v34
	v_dual_mov_b32 v152, v33 :: v_dual_mov_b32 v151, v32
	;; [unrolled: 1-line block ×4, first 2 shown]
	v_mul_f64_e32 v[172:173], s[26:27], v[88:89]
	s_mov_b32 s50, s24
	s_mov_b32 s53, 0x3feec746
	;; [unrolled: 1-line block ×3, first 2 shown]
	v_mul_f64_e32 v[174:175], s[44:45], v[88:89]
	v_mul_f64_e32 v[34:35], s[42:43], v[94:95]
	;; [unrolled: 1-line block ×6, first 2 shown]
	s_wait_alu 0xfffe
	v_mul_f64_e32 v[238:239], s[52:53], v[94:95]
	v_mul_f64_e32 v[20:21], s[30:31], v[96:97]
	v_add_f64_e32 v[84:85], v[78:79], v[84:85]
	v_add_f64_e32 v[86:87], v[76:77], v[86:87]
	s_delay_alu instid0(VALU_DEP_2) | instskip(NEXT) | instid1(VALU_DEP_2)
	v_add_f64_e32 v[84:85], v[82:83], v[84:85]
	v_add_f64_e32 v[86:87], v[80:81], v[86:87]
	s_delay_alu instid0(VALU_DEP_2) | instskip(NEXT) | instid1(VALU_DEP_2)
	;; [unrolled: 3-line block ×5, first 2 shown]
	v_add_f64_e32 v[90:91], v[58:59], v[84:85]
	v_add_f64_e32 v[92:93], v[56:57], v[86:87]
	;; [unrolled: 1-line block ×4, first 2 shown]
	v_add_f64_e64 v[86:87], v[56:57], -v[60:61]
	v_add_f64_e32 v[56:57], v[56:57], v[60:61]
	v_add_f64_e32 v[90:91], v[62:63], v[90:91]
	;; [unrolled: 1-line block ×3, first 2 shown]
	v_add_f64_e64 v[62:63], v[50:51], -v[54:55]
	v_add_f64_e32 v[50:51], v[42:43], v[46:47]
	v_add_f64_e64 v[60:61], v[48:49], -v[52:53]
	v_add_f64_e32 v[48:49], v[48:49], v[52:53]
	v_mul_f64_e32 v[190:191], s[30:31], v[86:87]
	v_mul_f64_e32 v[228:229], s[40:41], v[86:87]
	v_mul_f64_e32 v[198:199], s[34:35], v[86:87]
	v_add_f64_e32 v[90:91], v[54:55], v[90:91]
	v_add_f64_e32 v[92:93], v[52:53], v[92:93]
	v_add_f64_e64 v[54:55], v[42:43], -v[46:47]
	v_add_f64_e64 v[52:53], v[40:41], -v[44:45]
	v_add_f64_e32 v[40:41], v[40:41], v[44:45]
	v_add_f64_e32 v[42:43], v[18:19], v[38:39]
	v_mul_f64_e32 v[186:187], s[38:39], v[60:61]
	v_mul_f64_e32 v[224:225], s[44:45], v[60:61]
	;; [unrolled: 1-line block ×7, first 2 shown]
	v_add_f64_e32 v[46:47], v[46:47], v[90:91]
	v_add_f64_e32 v[44:45], v[44:45], v[92:93]
	v_add_f64_e64 v[92:93], v[18:19], -v[38:39]
	v_add_f64_e64 v[90:91], v[16:17], -v[36:37]
	v_add_f64_e32 v[16:17], v[16:17], v[36:37]
	v_add_f64_e32 v[18:19], v[80:81], v[12:13]
	v_add_f64_e64 v[80:81], v[82:83], -v[14:15]
	v_mul_f64_e32 v[182:183], s[24:25], v[52:53]
	v_mul_f64_e32 v[220:221], s[52:53], v[52:53]
	;; [unrolled: 1-line block ×7, first 2 shown]
	v_add_f64_e32 v[38:39], v[38:39], v[46:47]
	v_add_f64_e32 v[44:45], v[36:37], v[44:45]
	;; [unrolled: 1-line block ×3, first 2 shown]
	v_add_f64_e64 v[82:83], v[76:77], -v[8:9]
	v_add_f64_e32 v[46:47], v[74:75], v[6:7]
	v_mul_f64_e32 v[178:179], s[46:47], v[90:91]
	v_mul_f64_e32 v[22:23], s[42:43], v[80:81]
	;; [unrolled: 1-line block ×8, first 2 shown]
	v_add_f64_e32 v[14:15], v[14:15], v[38:39]
	v_add_f64_e32 v[12:13], v[12:13], v[44:45]
	;; [unrolled: 1-line block ×4, first 2 shown]
	v_add_f64_e64 v[76:77], v[78:79], -v[10:11]
	v_add_f64_e64 v[78:79], v[74:75], -v[6:7]
	v_mul_f64_e32 v[208:209], s[24:25], v[82:83]
	v_mul_f64_e32 v[28:29], s[52:53], v[82:83]
	v_add_f64_e32 v[10:11], v[14:15], v[10:11]
	v_add_f64_e32 v[8:9], v[8:9], v[12:13]
	;; [unrolled: 1-line block ×4, first 2 shown]
	v_mul_f64_e32 v[26:27], s[36:37], v[76:77]
	v_mul_f64_e32 v[206:207], s[42:43], v[78:79]
	;; [unrolled: 1-line block ×5, first 2 shown]
	v_add_f64_e32 v[6:7], v[10:11], v[6:7]
	v_add_f64_e64 v[10:11], v[70:71], -v[2:3]
	v_add_f64_e32 v[4:5], v[4:5], v[8:9]
	v_add_f64_e64 v[8:9], v[68:69], -v[0:1]
	s_delay_alu instid0(VALU_DEP_4) | instskip(NEXT) | instid1(VALU_DEP_4)
	v_add_f64_e32 v[2:3], v[6:7], v[2:3]
	v_mul_f64_e32 v[123:124], s[24:25], v[10:11]
	s_delay_alu instid0(VALU_DEP_4) | instskip(NEXT) | instid1(VALU_DEP_4)
	v_add_f64_e32 v[0:1], v[4:5], v[0:1]
	v_mul_f64_e32 v[70:71], s[46:47], v[8:9]
	v_mul_f64_e32 v[125:126], s[46:47], v[10:11]
	;; [unrolled: 1-line block ×13, first 2 shown]
	v_fma_f64 v[137:138], v[14:15], s[10:11], -v[123:124]
	v_fma_f64 v[123:124], v[14:15], s[10:11], v[123:124]
	scratch_store_b128 off, v[0:3], off offset:24 ; 16-byte Folded Spill
	v_fma_f64 v[110:111], v[12:13], s[14:15], v[70:71]
	v_fma_f64 v[139:140], v[14:15], s[14:15], -v[125:126]
	v_fma_f64 v[112:113], v[12:13], s[16:17], v[74:75]
	v_fma_f64 v[141:142], v[14:15], s[16:17], -v[127:128]
	v_fma_f64 v[114:115], v[12:13], s[18:19], -v[100:101]
	v_fma_f64 v[100:101], v[12:13], s[18:19], v[100:101]
	v_fma_f64 v[143:144], v[14:15], s[18:19], v[129:130]
	v_fma_f64 v[129:130], v[14:15], s[18:19], -v[129:130]
	v_fma_f64 v[117:118], v[12:13], s[20:21], -v[102:103]
	v_fma_f64 v[102:103], v[12:13], s[20:21], v[102:103]
	v_fma_f64 v[145:146], v[14:15], s[20:21], v[131:132]
	v_fma_f64 v[131:132], v[14:15], s[20:21], -v[131:132]
	v_fma_f64 v[104:105], v[12:13], s[4:5], v[4:5]
	v_fma_f64 v[4:5], v[12:13], s[4:5], -v[4:5]
	;; [unrolled: 2-line block ×4, first 2 shown]
	v_fma_f64 v[70:71], v[12:13], s[14:15], -v[70:71]
	v_fma_f64 v[74:75], v[12:13], s[16:17], -v[74:75]
	;; [unrolled: 1-line block ×3, first 2 shown]
	v_fma_f64 v[8:9], v[12:13], s[22:23], v[8:9]
	v_mul_f64_e32 v[12:13], s[30:31], v[10:11]
	v_mul_f64_e32 v[10:11], s[28:29], v[10:11]
	v_fma_f64 v[135:136], v[14:15], s[6:7], -v[121:122]
	v_fma_f64 v[121:122], v[14:15], s[6:7], v[121:122]
	v_fma_f64 v[125:126], v[14:15], s[14:15], v[125:126]
	;; [unrolled: 1-line block ×3, first 2 shown]
	v_add_f64_e32 v[137:138], v[64:65], v[137:138]
	v_add_f64_e32 v[0:1], v[64:65], v[123:124]
	;; [unrolled: 1-line block ×8, first 2 shown]
	v_fma_f64 v[133:134], v[14:15], s[4:5], -v[12:13]
	v_fma_f64 v[12:13], v[14:15], s[4:5], v[12:13]
	v_fma_f64 v[147:148], v[14:15], s[22:23], v[10:11]
	v_fma_f64 v[10:11], v[14:15], s[22:23], -v[10:11]
	v_add_f64_e32 v[14:15], v[66:67], v[104:105]
	v_add_f64_e32 v[123:124], v[64:65], v[127:128]
	;; [unrolled: 1-line block ×6, first 2 shown]
	v_mul_f64_e32 v[125:126], s[48:49], v[78:79]
	scratch_store_b64 off, v[0:1], off offset:152 ; 8-byte Folded Spill
	v_add_f64_e32 v[0:1], v[66:67], v[110:111]
	v_add_f64_e32 v[110:111], v[66:67], v[119:120]
	;; [unrolled: 1-line block ×3, first 2 shown]
	v_dual_mov_b32 v143, v98 :: v_dual_mov_b32 v98, v161
	v_add_f64_e32 v[104:105], v[64:65], v[133:134]
	v_add_f64_e32 v[133:134], v[66:67], v[4:5]
	;; [unrolled: 1-line block ×4, first 2 shown]
	scratch_store_b64 off, v[0:1], off offset:144 ; 8-byte Folded Spill
	v_add_f64_e32 v[0:1], v[64:65], v[139:140]
	scratch_store_b64 off, v[0:1], off offset:136 ; 8-byte Folded Spill
	v_add_f64_e32 v[0:1], v[66:67], v[112:113]
	v_add_f64_e32 v[112:113], v[66:67], v[117:118]
	;; [unrolled: 1-line block ×3, first 2 shown]
	scratch_store_b64 off, v[0:1], off offset:128 ; 8-byte Folded Spill
	v_add_f64_e32 v[0:1], v[64:65], v[141:142]
	v_dual_mov_b32 v139, v167 :: v_dual_mov_b32 v140, v168
	v_dual_mov_b32 v141, v169 :: v_dual_mov_b32 v142, v170
	v_mul_f64_e32 v[170:171], s[26:27], v[86:87]
	v_mov_b32_e32 v161, v255
	v_mul_f64_e32 v[254:255], s[38:39], v[88:89]
	scratch_store_b64 off, v[0:1], off offset:120 ; 8-byte Folded Spill
	v_add_f64_e32 v[0:1], v[66:67], v[100:101]
	scratch_store_b64 off, v[0:1], off offset:112 ; 8-byte Folded Spill
	v_add_f64_e32 v[0:1], v[64:65], v[129:130]
	v_mul_f64_e32 v[129:130], s[48:49], v[96:97]
	scratch_store_b64 off, v[0:1], off offset:104 ; 8-byte Folded Spill
	v_add_f64_e32 v[0:1], v[66:67], v[102:103]
	scratch_store_b64 off, v[0:1], off offset:96 ; 8-byte Folded Spill
	v_add_f64_e32 v[0:1], v[64:65], v[131:132]
	;; [unrolled: 2-line block ×3, first 2 shown]
	v_mul_f64_e32 v[8:9], s[40:41], v[96:97]
	v_fma_f64 v[66:67], v[18:19], s[22:23], v[180:181]
	scratch_store_b64 off, v[0:1], off offset:80 ; 8-byte Folded Spill
	v_fma_f64 v[4:5], v[46:47], s[22:23], v[8:9]
	v_add_f64_e32 v[0:1], v[64:65], v[10:11]
	v_mul_f64_e32 v[10:11], s[40:41], v[78:79]
	v_fma_f64 v[8:9], v[46:47], s[22:23], -v[8:9]
	v_mul_f64_e32 v[64:65], s[36:37], v[82:83]
	v_add_f64_e32 v[4:5], v[4:5], v[14:15]
	v_mul_f64_e32 v[14:15], s[38:39], v[82:83]
	v_fma_f64 v[6:7], v[72:73], s[22:23], -v[10:11]
	v_fma_f64 v[10:11], v[72:73], s[22:23], v[10:11]
	v_add_f64_e32 v[8:9], v[8:9], v[133:134]
	scratch_store_b64 off, v[0:1], off offset:72 ; 8-byte Folded Spill
	v_fma_f64 v[100:101], v[44:45], s[6:7], v[14:15]
	v_add_f64_e32 v[6:7], v[6:7], v[104:105]
	v_add_f64_e32 v[10:11], v[10:11], v[12:13]
	v_fma_f64 v[12:13], v[44:45], s[6:7], -v[14:15]
	v_fma_f64 v[14:15], v[56:57], s[16:17], v[172:173]
	v_add_f64_e32 v[4:5], v[100:101], v[4:5]
	v_mul_f64_e32 v[100:101], s[38:39], v[76:77]
	s_delay_alu instid0(VALU_DEP_4) | instskip(NEXT) | instid1(VALU_DEP_2)
	v_add_f64_e32 v[8:9], v[12:13], v[8:9]
	v_fma_f64 v[102:103], v[38:39], s[6:7], -v[100:101]
	v_fma_f64 v[12:13], v[38:39], s[6:7], v[100:101]
	v_mul_f64_e32 v[100:101], s[44:45], v[96:97]
	s_delay_alu instid0(VALU_DEP_3) | instskip(SKIP_1) | instid1(VALU_DEP_4)
	v_add_f64_e32 v[6:7], v[102:103], v[6:7]
	v_mul_f64_e32 v[102:103], s[34:35], v[94:95]
	v_add_f64_e32 v[10:11], v[12:13], v[10:11]
	s_delay_alu instid0(VALU_DEP_2) | instskip(SKIP_2) | instid1(VALU_DEP_3)
	v_fma_f64 v[104:105], v[36:37], s[20:21], v[102:103]
	v_fma_f64 v[12:13], v[36:37], s[20:21], -v[102:103]
	v_mul_f64_e32 v[102:103], s[44:45], v[78:79]
	v_add_f64_e32 v[4:5], v[104:105], v[4:5]
	v_mul_f64_e32 v[104:105], s[34:35], v[80:81]
	s_delay_alu instid0(VALU_DEP_4) | instskip(NEXT) | instid1(VALU_DEP_2)
	v_add_f64_e32 v[8:9], v[12:13], v[8:9]
	v_fma_f64 v[131:132], v[18:19], s[20:21], -v[104:105]
	v_fma_f64 v[12:13], v[18:19], s[20:21], v[104:105]
	v_mul_f64_e32 v[104:105], s[42:43], v[82:83]
	s_delay_alu instid0(VALU_DEP_3) | instskip(SKIP_1) | instid1(VALU_DEP_4)
	v_add_f64_e32 v[6:7], v[131:132], v[6:7]
	v_mul_f64_e32 v[131:132], s[24:25], v[90:91]
	v_add_f64_e32 v[10:11], v[12:13], v[10:11]
	s_delay_alu instid0(VALU_DEP_2) | instskip(SKIP_1) | instid1(VALU_DEP_2)
	v_fma_f64 v[145:146], v[42:43], s[10:11], v[131:132]
	v_fma_f64 v[12:13], v[42:43], s[10:11], -v[131:132]
	v_add_f64_e32 v[4:5], v[145:146], v[4:5]
	v_mul_f64_e32 v[145:146], s[24:25], v[92:93]
	s_delay_alu instid0(VALU_DEP_3) | instskip(NEXT) | instid1(VALU_DEP_2)
	v_add_f64_e32 v[8:9], v[12:13], v[8:9]
	v_fma_f64 v[147:148], v[16:17], s[10:11], -v[145:146]
	v_fma_f64 v[12:13], v[16:17], s[10:11], v[145:146]
	s_delay_alu instid0(VALU_DEP_2) | instskip(SKIP_1) | instid1(VALU_DEP_3)
	v_add_f64_e32 v[6:7], v[147:148], v[6:7]
	v_mul_f64_e32 v[147:148], s[44:45], v[52:53]
	v_add_f64_e32 v[10:11], v[12:13], v[10:11]
	s_delay_alu instid0(VALU_DEP_2) | instskip(SKIP_1) | instid1(VALU_DEP_2)
	v_fma_f64 v[162:163], v[50:51], s[18:19], v[147:148]
	v_fma_f64 v[12:13], v[50:51], s[18:19], -v[147:148]
	v_add_f64_e32 v[4:5], v[162:163], v[4:5]
	v_mul_f64_e32 v[162:163], s[44:45], v[54:55]
	s_delay_alu instid0(VALU_DEP_3) | instskip(NEXT) | instid1(VALU_DEP_2)
	v_add_f64_e32 v[8:9], v[12:13], v[8:9]
	v_fma_f64 v[164:165], v[40:41], s[18:19], -v[162:163]
	v_fma_f64 v[12:13], v[40:41], s[18:19], v[162:163]
	s_delay_alu instid0(VALU_DEP_2) | instskip(SKIP_1) | instid1(VALU_DEP_3)
	;; [unrolled: 13-line block ×3, first 2 shown]
	v_add_f64_e32 v[168:169], v[168:169], v[6:7]
	v_fma_f64 v[6:7], v[84:85], s[16:17], v[170:171]
	v_add_f64_e32 v[12:13], v[12:13], v[10:11]
	v_fma_f64 v[10:11], v[84:85], s[16:17], -v[170:171]
	v_mul_f64_e32 v[170:171], s[46:47], v[86:87]
	s_delay_alu instid0(VALU_DEP_4) | instskip(SKIP_3) | instid1(VALU_DEP_3)
	v_add_f64_e32 v[2:3], v[6:7], v[4:5]
	v_fma_f64 v[4:5], v[56:57], s[16:17], -v[172:173]
	v_mul_f64_e32 v[172:173], s[46:47], v[88:89]
	v_fma_f64 v[6:7], v[72:73], s[4:5], v[24:25]
	v_add_f64_e32 v[0:1], v[4:5], v[168:169]
	v_mul_f64_e32 v[4:5], s[38:39], v[62:63]
	s_delay_alu instid0(VALU_DEP_3)
	v_add_f64_e32 v[6:7], v[6:7], v[123:124]
	scratch_store_b128 off, v[0:3], off offset:40 ; 16-byte Folded Spill
	v_add_f64_e32 v[0:1], v[14:15], v[12:13]
	v_fma_f64 v[12:13], v[46:47], s[18:19], v[100:101]
	v_fma_f64 v[14:15], v[72:73], s[18:19], -v[102:103]
	v_fma_f64 v[100:101], v[46:47], s[18:19], -v[100:101]
	v_fma_f64 v[102:103], v[72:73], s[18:19], v[102:103]
	v_add_f64_e32 v[2:3], v[10:11], v[8:9]
	v_mul_f64_e32 v[8:9], s[24:25], v[54:55]
	v_fma_f64 v[10:11], v[44:45], s[14:15], -v[28:29]
	v_add_f64_e32 v[12:13], v[12:13], v[106:107]
	v_fma_f64 v[106:107], v[44:45], s[16:17], v[104:105]
	v_add_f64_e32 v[14:15], v[14:15], v[135:136]
	v_add_f64_e32 v[100:101], v[100:101], v[149:150]
	v_fma_f64 v[104:105], v[44:45], s[16:17], -v[104:105]
	v_add_f64_e32 v[102:103], v[102:103], v[121:122]
	v_mul_f64_e32 v[149:150], s[26:27], v[90:91]
	scratch_store_b128 off, v[0:3], off offset:56 ; 16-byte Folded Spill
	v_mul_f64_e32 v[2:3], s[30:31], v[88:89]
	v_mul_f64_e32 v[0:1], s[38:39], v[86:87]
	v_add_f64_e32 v[12:13], v[106:107], v[12:13]
	v_mul_f64_e32 v[106:107], s[42:43], v[76:77]
	v_add_f64_e32 v[100:101], v[104:105], v[100:101]
	s_delay_alu instid0(VALU_DEP_2) | instskip(SKIP_2) | instid1(VALU_DEP_3)
	v_fma_f64 v[131:132], v[38:39], s[16:17], -v[106:107]
	v_fma_f64 v[104:105], v[38:39], s[16:17], v[106:107]
	v_fma_f64 v[106:107], v[56:57], s[14:15], v[172:173]
	v_add_f64_e32 v[14:15], v[131:132], v[14:15]
	v_mul_f64_e32 v[131:132], s[50:51], v[94:95]
	s_delay_alu instid0(VALU_DEP_4) | instskip(NEXT) | instid1(VALU_DEP_2)
	v_add_f64_e32 v[102:103], v[104:105], v[102:103]
	v_fma_f64 v[133:134], v[36:37], s[10:11], v[131:132]
	v_fma_f64 v[104:105], v[36:37], s[10:11], -v[131:132]
	v_mul_f64_e32 v[131:132], s[52:53], v[96:97]
	s_delay_alu instid0(VALU_DEP_3) | instskip(SKIP_1) | instid1(VALU_DEP_4)
	v_add_f64_e32 v[12:13], v[133:134], v[12:13]
	v_mul_f64_e32 v[133:134], s[50:51], v[80:81]
	v_add_f64_e32 v[100:101], v[104:105], v[100:101]
	s_delay_alu instid0(VALU_DEP_2) | instskip(SKIP_2) | instid1(VALU_DEP_3)
	v_fma_f64 v[135:136], v[18:19], s[10:11], -v[133:134]
	v_fma_f64 v[104:105], v[18:19], s[10:11], v[133:134]
	v_mul_f64_e32 v[133:134], s[52:53], v[78:79]
	v_add_f64_e32 v[14:15], v[135:136], v[14:15]
	v_mul_f64_e32 v[135:136], s[28:29], v[90:91]
	s_delay_alu instid0(VALU_DEP_4) | instskip(NEXT) | instid1(VALU_DEP_2)
	v_add_f64_e32 v[102:103], v[104:105], v[102:103]
	v_fma_f64 v[145:146], v[42:43], s[22:23], v[135:136]
	v_fma_f64 v[104:105], v[42:43], s[22:23], -v[135:136]
	v_mul_f64_e32 v[135:136], s[28:29], v[82:83]
	s_delay_alu instid0(VALU_DEP_3) | instskip(SKIP_1) | instid1(VALU_DEP_4)
	v_add_f64_e32 v[12:13], v[145:146], v[12:13]
	v_mul_f64_e32 v[145:146], s[28:29], v[92:93]
	v_add_f64_e32 v[100:101], v[104:105], v[100:101]
	s_delay_alu instid0(VALU_DEP_2) | instskip(SKIP_2) | instid1(VALU_DEP_3)
	v_fma_f64 v[147:148], v[16:17], s[22:23], -v[145:146]
	v_fma_f64 v[104:105], v[16:17], s[22:23], v[145:146]
	v_mul_f64_e32 v[145:146], s[38:39], v[94:95]
	v_add_f64_e32 v[14:15], v[147:148], v[14:15]
	v_mul_f64_e32 v[147:148], s[30:31], v[52:53]
	s_delay_alu instid0(VALU_DEP_4) | instskip(NEXT) | instid1(VALU_DEP_2)
	v_add_f64_e32 v[102:103], v[104:105], v[102:103]
	v_fma_f64 v[162:163], v[50:51], s[4:5], v[147:148]
	v_fma_f64 v[104:105], v[50:51], s[4:5], -v[147:148]
	v_mul_f64_e32 v[147:148], s[38:39], v[80:81]
	v_mul_f64_e32 v[80:81], s[36:37], v[80:81]
	s_delay_alu instid0(VALU_DEP_4) | instskip(SKIP_2) | instid1(VALU_DEP_2)
	v_add_f64_e32 v[12:13], v[162:163], v[12:13]
	v_mul_f64_e32 v[162:163], s[30:31], v[54:55]
	v_add_f64_e32 v[100:101], v[104:105], v[100:101]
	v_fma_f64 v[164:165], v[40:41], s[4:5], -v[162:163]
	v_fma_f64 v[104:105], v[40:41], s[4:5], v[162:163]
	v_mul_f64_e32 v[162:163], s[26:27], v[92:93]
	s_delay_alu instid0(VALU_DEP_3) | instskip(SKIP_1) | instid1(VALU_DEP_4)
	v_add_f64_e32 v[14:15], v[164:165], v[14:15]
	v_mul_f64_e32 v[164:165], s[34:35], v[60:61]
	v_add_f64_e32 v[102:103], v[104:105], v[102:103]
	s_delay_alu instid0(VALU_DEP_2) | instskip(SKIP_2) | instid1(VALU_DEP_3)
	v_fma_f64 v[166:167], v[58:59], s[20:21], v[164:165]
	v_fma_f64 v[104:105], v[58:59], s[20:21], -v[164:165]
	v_mul_f64_e32 v[164:165], s[48:49], v[52:53]
	v_add_f64_e32 v[12:13], v[166:167], v[12:13]
	v_mul_f64_e32 v[166:167], s[34:35], v[62:63]
	s_delay_alu instid0(VALU_DEP_4) | instskip(NEXT) | instid1(VALU_DEP_2)
	v_add_f64_e32 v[100:101], v[104:105], v[100:101]
	v_fma_f64 v[104:105], v[48:49], s[20:21], v[166:167]
	v_fma_f64 v[168:169], v[48:49], s[20:21], -v[166:167]
	v_mul_f64_e32 v[166:167], s[48:49], v[54:55]
	s_delay_alu instid0(VALU_DEP_3) | instskip(SKIP_1) | instid1(VALU_DEP_4)
	v_add_f64_e32 v[104:105], v[104:105], v[102:103]
	v_fma_f64 v[102:103], v[84:85], s[14:15], -v[170:171]
	v_add_f64_e32 v[168:169], v[168:169], v[14:15]
	v_fma_f64 v[14:15], v[84:85], s[14:15], v[170:171]
	v_mul_f64_e32 v[170:171], s[30:31], v[62:63]
	s_delay_alu instid0(VALU_DEP_4)
	v_add_f64_e32 v[102:103], v[102:103], v[100:101]
	v_add_f64_e32 v[100:101], v[106:107], v[104:105]
	v_fma_f64 v[104:105], v[46:47], s[14:15], v[131:132]
	v_fma_f64 v[106:107], v[72:73], s[14:15], -v[133:134]
	v_add_f64_e32 v[157:158], v[14:15], v[12:13]
	v_fma_f64 v[12:13], v[56:57], s[14:15], -v[172:173]
	v_mul_f64_e32 v[172:173], s[44:45], v[86:87]
	s_mov_b32 s45, 0x3fc7851a
	s_mov_b32 s44, s30
	v_fma_f64 v[14:15], v[38:39], s[14:15], v[176:177]
	s_wait_alu 0xfffe
	v_mul_f64_e32 v[234:235], s[44:45], v[82:83]
	v_mul_f64_e32 v[236:237], s[44:45], v[76:77]
	;; [unrolled: 1-line block ×3, first 2 shown]
	v_add_f64_e32 v[104:105], v[104:105], v[108:109]
	v_add_f64_e32 v[106:107], v[106:107], v[137:138]
	v_fma_f64 v[108:109], v[44:45], s[22:23], v[135:136]
	v_mul_f64_e32 v[137:138], s[28:29], v[76:77]
	v_add_f64_e32 v[155:156], v[12:13], v[168:169]
	v_mul_f64_e32 v[168:169], s[30:31], v[60:61]
	v_mul_f64_e32 v[12:13], s[46:47], v[92:93]
	s_mov_b32 s47, 0x3fe0d888
	s_mov_b32 s46, s38
	v_add_f64_e32 v[6:7], v[14:15], v[6:7]
	s_wait_alu 0xfffe
	v_mul_f64_e32 v[216:217], s[46:47], v[90:91]
	v_mul_f64_e32 v[218:219], s[46:47], v[92:93]
	;; [unrolled: 1-line block ×5, first 2 shown]
	v_add_f64_e32 v[104:105], v[108:109], v[104:105]
	v_fma_f64 v[108:109], v[38:39], s[22:23], -v[137:138]
	v_add_f64_e32 v[6:7], v[66:67], v[6:7]
	v_mul_f64_e32 v[66:67], s[36:37], v[90:91]
	v_mul_f64_e32 v[90:91], s[30:31], v[90:91]
	s_delay_alu instid0(VALU_DEP_4) | instskip(SKIP_1) | instid1(VALU_DEP_1)
	v_add_f64_e32 v[106:107], v[108:109], v[106:107]
	v_fma_f64 v[108:109], v[36:37], s[6:7], v[145:146]
	v_add_f64_e32 v[104:105], v[108:109], v[104:105]
	v_fma_f64 v[108:109], v[18:19], s[6:7], -v[147:148]
	s_delay_alu instid0(VALU_DEP_1) | instskip(SKIP_1) | instid1(VALU_DEP_1)
	v_add_f64_e32 v[106:107], v[108:109], v[106:107]
	v_fma_f64 v[108:109], v[42:43], s[16:17], v[149:150]
	v_add_f64_e32 v[104:105], v[108:109], v[104:105]
	v_fma_f64 v[108:109], v[16:17], s[16:17], -v[162:163]
	s_delay_alu instid0(VALU_DEP_1) | instskip(SKIP_1) | instid1(VALU_DEP_1)
	v_add_f64_e32 v[106:107], v[108:109], v[106:107]
	v_fma_f64 v[108:109], v[50:51], s[20:21], v[164:165]
	v_add_f64_e32 v[104:105], v[108:109], v[104:105]
	v_fma_f64 v[108:109], v[40:41], s[20:21], -v[166:167]
	s_delay_alu instid0(VALU_DEP_1) | instskip(SKIP_1) | instid1(VALU_DEP_1)
	v_add_f64_e32 v[106:107], v[108:109], v[106:107]
	v_fma_f64 v[108:109], v[58:59], s[4:5], v[168:169]
	v_add_f64_e32 v[104:105], v[108:109], v[104:105]
	v_fma_f64 v[108:109], v[48:49], s[4:5], -v[170:171]
	s_delay_alu instid0(VALU_DEP_1) | instskip(SKIP_1) | instid1(VALU_DEP_1)
	v_add_f64_e32 v[108:109], v[108:109], v[106:107]
	v_fma_f64 v[106:107], v[84:85], s[18:19], v[172:173]
	v_add_f64_e32 v[106:107], v[106:107], v[104:105]
	v_fma_f64 v[104:105], v[56:57], s[18:19], -v[174:175]
	s_delay_alu instid0(VALU_DEP_1) | instskip(SKIP_1) | instid1(VALU_DEP_1)
	v_add_f64_e32 v[104:105], v[104:105], v[108:109]
	v_fma_f64 v[108:109], v[46:47], s[20:21], -v[129:130]
	v_add_f64_e32 v[108:109], v[108:109], v[110:111]
	v_fma_f64 v[110:111], v[72:73], s[20:21], v[125:126]
	s_delay_alu instid0(VALU_DEP_1) | instskip(SKIP_1) | instid1(VALU_DEP_1)
	v_add_f64_e32 v[110:111], v[110:111], v[114:115]
	v_fma_f64 v[114:115], v[44:45], s[18:19], -v[64:65]
	v_add_f64_e32 v[108:109], v[114:115], v[108:109]
	v_fma_f64 v[114:115], v[38:39], s[18:19], v[26:27]
	s_delay_alu instid0(VALU_DEP_1) | instskip(SKIP_1) | instid1(VALU_DEP_1)
	;; [unrolled: 5-line block ×3, first 2 shown]
	v_add_f64_e32 v[110:111], v[114:115], v[110:111]
	v_fma_f64 v[114:115], v[42:43], s[14:15], -v[178:179]
	v_add_f64_e32 v[108:109], v[114:115], v[108:109]
	v_fma_f64 v[114:115], v[16:17], s[14:15], v[12:13]
	v_fma_f64 v[12:13], v[16:17], s[14:15], -v[12:13]
	s_delay_alu instid0(VALU_DEP_2) | instskip(SKIP_1) | instid1(VALU_DEP_1)
	v_add_f64_e32 v[110:111], v[114:115], v[110:111]
	v_fma_f64 v[114:115], v[50:51], s[10:11], -v[182:183]
	v_add_f64_e32 v[108:109], v[114:115], v[108:109]
	v_fma_f64 v[114:115], v[40:41], s[10:11], v[8:9]
	v_fma_f64 v[8:9], v[40:41], s[10:11], -v[8:9]
	s_delay_alu instid0(VALU_DEP_2) | instskip(SKIP_1) | instid1(VALU_DEP_1)
	;; [unrolled: 6-line block ×4, first 2 shown]
	v_add_f64_e32 v[108:109], v[108:109], v[114:115]
	v_fma_f64 v[114:115], v[46:47], s[16:17], -v[204:205]
	v_add_f64_e32 v[112:113], v[114:115], v[112:113]
	v_fma_f64 v[114:115], v[72:73], s[16:17], v[206:207]
	s_delay_alu instid0(VALU_DEP_1) | instskip(SKIP_1) | instid1(VALU_DEP_1)
	v_add_f64_e32 v[114:115], v[114:115], v[117:118]
	v_fma_f64 v[117:118], v[44:45], s[10:11], -v[208:209]
	v_add_f64_e32 v[112:113], v[117:118], v[112:113]
	v_fma_f64 v[117:118], v[38:39], s[10:11], v[210:211]
	s_delay_alu instid0(VALU_DEP_1) | instskip(SKIP_1) | instid1(VALU_DEP_1)
	;; [unrolled: 5-line block ×7, first 2 shown]
	v_add_f64_e32 v[112:113], v[112:113], v[117:118]
	v_fma_f64 v[117:118], v[46:47], s[10:11], -v[232:233]
	v_add_f64_e32 v[117:118], v[117:118], v[127:128]
	v_mul_f64_e32 v[127:128], s[24:25], v[78:79]
	s_delay_alu instid0(VALU_DEP_1) | instskip(NEXT) | instid1(VALU_DEP_1)
	v_fma_f64 v[121:122], v[72:73], s[10:11], v[127:128]
	v_add_f64_e32 v[119:120], v[121:122], v[119:120]
	v_fma_f64 v[121:122], v[44:45], s[4:5], -v[234:235]
	s_delay_alu instid0(VALU_DEP_1) | instskip(SKIP_1) | instid1(VALU_DEP_1)
	v_add_f64_e32 v[117:118], v[121:122], v[117:118]
	v_fma_f64 v[121:122], v[38:39], s[4:5], v[236:237]
	v_add_f64_e32 v[119:120], v[121:122], v[119:120]
	v_fma_f64 v[121:122], v[36:37], s[14:15], -v[238:239]
	s_delay_alu instid0(VALU_DEP_1) | instskip(SKIP_1) | instid1(VALU_DEP_1)
	v_add_f64_e32 v[117:118], v[121:122], v[117:118]
	;; [unrolled: 5-line block ×5, first 2 shown]
	v_fma_f64 v[121:122], v[48:49], s[16:17], v[252:253]
	v_add_f64_e32 v[121:122], v[121:122], v[119:120]
	v_fma_f64 v[119:120], v[84:85], s[6:7], -v[0:1]
	v_fma_f64 v[0:1], v[84:85], s[6:7], v[0:1]
	s_delay_alu instid0(VALU_DEP_2) | instskip(SKIP_1) | instid1(VALU_DEP_1)
	v_add_f64_e32 v[119:120], v[119:120], v[117:118]
	v_fma_f64 v[117:118], v[56:57], s[6:7], v[254:255]
	v_add_f64_e32 v[117:118], v[117:118], v[121:122]
	v_fma_f64 v[121:122], v[46:47], s[4:5], -v[20:21]
	s_delay_alu instid0(VALU_DEP_1) | instskip(NEXT) | instid1(VALU_DEP_1)
	v_add_f64_e32 v[74:75], v[121:122], v[74:75]
	v_add_f64_e32 v[10:11], v[10:11], v[74:75]
	v_fma_f64 v[74:75], v[36:37], s[22:23], -v[14:15]
	v_fma_f64 v[14:15], v[36:37], s[22:23], v[14:15]
	s_delay_alu instid0(VALU_DEP_2) | instskip(SKIP_1) | instid1(VALU_DEP_1)
	v_add_f64_e32 v[10:11], v[74:75], v[10:11]
	v_fma_f64 v[74:75], v[42:43], s[18:19], -v[66:67]
	v_add_f64_e32 v[10:11], v[74:75], v[10:11]
	v_fma_f64 v[74:75], v[16:17], s[18:19], v[184:185]
	s_delay_alu instid0(VALU_DEP_1) | instskip(SKIP_1) | instid1(VALU_DEP_1)
	v_add_f64_e32 v[6:7], v[74:75], v[6:7]
	v_fma_f64 v[74:75], v[50:51], s[6:7], -v[188:189]
	v_add_f64_e32 v[10:11], v[74:75], v[10:11]
	v_fma_f64 v[74:75], v[40:41], s[6:7], v[192:193]
	s_delay_alu instid0(VALU_DEP_1) | instskip(SKIP_1) | instid1(VALU_DEP_1)
	;; [unrolled: 5-line block ×3, first 2 shown]
	v_add_f64_e32 v[6:7], v[74:75], v[6:7]
	v_fma_f64 v[74:75], v[84:85], s[20:21], -v[198:199]
	v_add_f64_e32 v[123:124], v[74:75], v[10:11]
	v_mul_f64_e32 v[10:11], s[34:35], v[88:89]
	v_mul_f64_e32 v[88:89], s[24:25], v[88:89]
	s_delay_alu instid0(VALU_DEP_2) | instskip(SKIP_1) | instid1(VALU_DEP_2)
	v_fma_f64 v[74:75], v[56:57], s[20:21], v[10:11]
	v_fma_f64 v[10:11], v[56:57], s[20:21], -v[10:11]
	v_add_f64_e32 v[121:122], v[74:75], v[6:7]
	v_mul_f64_e32 v[6:7], s[46:47], v[96:97]
	v_mul_f64_e32 v[96:97], s[28:29], v[62:63]
	v_fma_f64 v[62:63], v[72:73], s[14:15], v[133:134]
	v_fma_f64 v[133:134], v[56:57], s[18:19], v[174:175]
	s_delay_alu instid0(VALU_DEP_4) | instskip(SKIP_1) | instid1(VALU_DEP_2)
	v_fma_f64 v[74:75], v[46:47], s[6:7], -v[6:7]
	v_fma_f64 v[6:7], v[46:47], s[6:7], v[6:7]
	v_add_f64_e32 v[70:71], v[74:75], v[70:71]
	v_mul_f64_e32 v[74:75], s[46:47], v[78:79]
	s_delay_alu instid0(VALU_DEP_1) | instskip(SKIP_1) | instid1(VALU_DEP_2)
	v_fma_f64 v[78:79], v[72:73], s[6:7], v[74:75]
	v_fma_f64 v[74:75], v[72:73], s[6:7], -v[74:75]
	v_add_f64_e32 v[68:69], v[78:79], v[68:69]
	v_mul_f64_e32 v[78:79], s[34:35], v[82:83]
	s_delay_alu instid0(VALU_DEP_1) | instskip(SKIP_1) | instid1(VALU_DEP_2)
	v_fma_f64 v[82:83], v[44:45], s[20:21], -v[78:79]
	v_fma_f64 v[78:79], v[44:45], s[20:21], v[78:79]
	v_add_f64_e32 v[70:71], v[82:83], v[70:71]
	v_fma_f64 v[82:83], v[38:39], s[20:21], v[76:77]
	v_fma_f64 v[76:77], v[38:39], s[20:21], -v[76:77]
	s_delay_alu instid0(VALU_DEP_2) | instskip(SKIP_1) | instid1(VALU_DEP_1)
	v_add_f64_e32 v[68:69], v[82:83], v[68:69]
	v_mul_f64_e32 v[82:83], s[36:37], v[94:95]
	v_fma_f64 v[94:95], v[36:37], s[18:19], -v[82:83]
	s_delay_alu instid0(VALU_DEP_1) | instskip(SKIP_1) | instid1(VALU_DEP_1)
	v_add_f64_e32 v[70:71], v[94:95], v[70:71]
	v_fma_f64 v[94:95], v[18:19], s[18:19], v[80:81]
	v_add_f64_e32 v[68:69], v[94:95], v[68:69]
	v_fma_f64 v[94:95], v[42:43], s[4:5], -v[90:91]
	s_delay_alu instid0(VALU_DEP_1) | instskip(SKIP_1) | instid1(VALU_DEP_1)
	v_add_f64_e32 v[70:71], v[94:95], v[70:71]
	v_fma_f64 v[94:95], v[16:17], s[4:5], v[92:93]
	v_add_f64_e32 v[68:69], v[94:95], v[68:69]
	v_mul_f64_e32 v[94:95], s[26:27], v[52:53]
	s_delay_alu instid0(VALU_DEP_1) | instskip(NEXT) | instid1(VALU_DEP_1)
	v_fma_f64 v[52:53], v[50:51], s[16:17], -v[94:95]
	v_add_f64_e32 v[52:53], v[52:53], v[70:71]
	v_mul_f64_e32 v[70:71], s[26:27], v[54:55]
	s_delay_alu instid0(VALU_DEP_1) | instskip(SKIP_1) | instid1(VALU_DEP_2)
	v_fma_f64 v[54:55], v[40:41], s[16:17], v[70:71]
	v_fma_f64 v[70:71], v[40:41], s[16:17], -v[70:71]
	v_add_f64_e32 v[54:55], v[54:55], v[68:69]
	v_mul_f64_e32 v[68:69], s[28:29], v[60:61]
	s_delay_alu instid0(VALU_DEP_1) | instskip(SKIP_1) | instid1(VALU_DEP_2)
	v_fma_f64 v[60:61], v[58:59], s[22:23], -v[68:69]
	v_fma_f64 v[68:69], v[58:59], s[22:23], v[68:69]
	v_add_f64_e32 v[52:53], v[60:61], v[52:53]
	v_fma_f64 v[60:61], v[48:49], s[22:23], v[96:97]
	s_delay_alu instid0(VALU_DEP_1) | instskip(SKIP_1) | instid1(VALU_DEP_1)
	v_add_f64_e32 v[60:61], v[60:61], v[54:55]
	v_fma_f64 v[54:55], v[84:85], s[10:11], -v[86:87]
	v_add_f64_e32 v[54:55], v[54:55], v[52:53]
	v_fma_f64 v[52:53], v[56:57], s[10:11], v[88:89]
	s_delay_alu instid0(VALU_DEP_1)
	v_add_f64_e32 v[52:53], v[52:53], v[60:61]
	v_fma_f64 v[60:61], v[46:47], s[14:15], -v[131:132]
	scratch_load_b64 v[131:132], off, off offset:152 th:TH_LOAD_LU ; 8-byte Folded Reload
	v_add_f64_e32 v[60:61], v[60:61], v[159:160]
	s_wait_loadcnt 0x0
	v_add_f64_e32 v[62:63], v[62:63], v[131:132]
	v_fma_f64 v[131:132], v[44:45], s[22:23], -v[135:136]
	s_delay_alu instid0(VALU_DEP_1) | instskip(SKIP_1) | instid1(VALU_DEP_1)
	v_add_f64_e32 v[60:61], v[131:132], v[60:61]
	v_fma_f64 v[131:132], v[38:39], s[22:23], v[137:138]
	v_add_f64_e32 v[62:63], v[131:132], v[62:63]
	v_fma_f64 v[131:132], v[36:37], s[6:7], -v[145:146]
	s_delay_alu instid0(VALU_DEP_1) | instskip(SKIP_1) | instid1(VALU_DEP_1)
	v_add_f64_e32 v[60:61], v[131:132], v[60:61]
	v_fma_f64 v[131:132], v[18:19], s[6:7], v[147:148]
	v_add_f64_e32 v[62:63], v[131:132], v[62:63]
	v_fma_f64 v[131:132], v[42:43], s[16:17], -v[149:150]
	s_delay_alu instid0(VALU_DEP_1) | instskip(SKIP_4) | instid1(VALU_DEP_1)
	v_add_f64_e32 v[60:61], v[131:132], v[60:61]
	v_fma_f64 v[131:132], v[16:17], s[16:17], v[162:163]
	scratch_load_b32 v162, off, off offset:16 ; 4-byte Folded Reload
	v_add_f64_e32 v[62:63], v[131:132], v[62:63]
	v_fma_f64 v[131:132], v[50:51], s[20:21], -v[164:165]
	v_add_f64_e32 v[60:61], v[131:132], v[60:61]
	v_fma_f64 v[131:132], v[40:41], s[20:21], v[166:167]
	s_delay_alu instid0(VALU_DEP_1) | instskip(SKIP_1) | instid1(VALU_DEP_1)
	v_add_f64_e32 v[62:63], v[131:132], v[62:63]
	v_fma_f64 v[131:132], v[58:59], s[4:5], -v[168:169]
	v_add_f64_e32 v[60:61], v[131:132], v[60:61]
	v_fma_f64 v[131:132], v[48:49], s[4:5], v[170:171]
	v_dual_mov_b32 v170, v142 :: v_dual_mov_b32 v167, v139
	v_dual_mov_b32 v169, v141 :: v_dual_mov_b32 v168, v140
	s_delay_alu instid0(VALU_DEP_3)
	v_add_f64_e32 v[131:132], v[131:132], v[62:63]
	v_fma_f64 v[62:63], v[84:85], s[18:19], -v[172:173]
	v_dual_mov_b32 v174, v33 :: v_dual_mov_b32 v173, v32
	v_dual_mov_b32 v172, v31 :: v_dual_mov_b32 v171, v30
	scratch_load_b64 v[30:31], off, off offset:144 th:TH_LOAD_LU ; 8-byte Folded Reload
	v_add_f64_e32 v[62:63], v[62:63], v[60:61]
	v_add_f64_e32 v[60:61], v[133:134], v[131:132]
	s_wait_loadcnt 0x0
	v_add_f64_e32 v[6:7], v[6:7], v[30:31]
	scratch_load_b64 v[30:31], off, off offset:136 th:TH_LOAD_LU ; 8-byte Folded Reload
	v_add_f64_e32 v[6:7], v[78:79], v[6:7]
	s_wait_loadcnt 0x0
	v_add_f64_e32 v[74:75], v[74:75], v[30:31]
	s_delay_alu instid0(VALU_DEP_1) | instskip(SKIP_1) | instid1(VALU_DEP_1)
	v_add_f64_e32 v[74:75], v[76:77], v[74:75]
	v_fma_f64 v[76:77], v[36:37], s[18:19], v[82:83]
	v_add_f64_e32 v[6:7], v[76:77], v[6:7]
	v_fma_f64 v[76:77], v[18:19], s[18:19], -v[80:81]
	s_delay_alu instid0(VALU_DEP_1) | instskip(SKIP_1) | instid1(VALU_DEP_1)
	v_add_f64_e32 v[74:75], v[76:77], v[74:75]
	v_fma_f64 v[76:77], v[42:43], s[4:5], v[90:91]
	v_add_f64_e32 v[6:7], v[76:77], v[6:7]
	v_fma_f64 v[76:77], v[16:17], s[4:5], -v[92:93]
	s_delay_alu instid0(VALU_DEP_1) | instskip(SKIP_1) | instid1(VALU_DEP_2)
	v_add_f64_e32 v[74:75], v[76:77], v[74:75]
	v_fma_f64 v[76:77], v[50:51], s[16:17], v[94:95]
	v_add_f64_e32 v[70:71], v[70:71], v[74:75]
	s_delay_alu instid0(VALU_DEP_2) | instskip(SKIP_1) | instid1(VALU_DEP_2)
	v_add_f64_e32 v[6:7], v[76:77], v[6:7]
	v_fma_f64 v[74:75], v[56:57], s[10:11], -v[88:89]
	v_add_f64_e32 v[6:7], v[68:69], v[6:7]
	v_fma_f64 v[68:69], v[48:49], s[22:23], -v[96:97]
	s_delay_alu instid0(VALU_DEP_1) | instskip(SKIP_1) | instid1(VALU_DEP_2)
	v_add_f64_e32 v[68:69], v[68:69], v[70:71]
	v_fma_f64 v[70:71], v[84:85], s[10:11], v[86:87]
	v_add_f64_e32 v[74:75], v[74:75], v[68:69]
	s_delay_alu instid0(VALU_DEP_2)
	v_add_f64_e32 v[76:77], v[70:71], v[6:7]
	v_fma_f64 v[6:7], v[46:47], s[4:5], v[20:21]
	scratch_load_b64 v[20:21], off, off offset:128 th:TH_LOAD_LU ; 8-byte Folded Reload
	s_wait_loadcnt 0x0
	v_add_f64_e32 v[6:7], v[6:7], v[20:21]
	v_fma_f64 v[20:21], v[44:45], s[14:15], v[28:29]
	s_delay_alu instid0(VALU_DEP_1) | instskip(SKIP_3) | instid1(VALU_DEP_1)
	v_add_f64_e32 v[6:7], v[20:21], v[6:7]
	scratch_load_b64 v[20:21], off, off offset:120 th:TH_LOAD_LU ; 8-byte Folded Reload
	v_add_f64_e32 v[6:7], v[14:15], v[6:7]
	v_fma_f64 v[14:15], v[42:43], s[18:19], v[66:67]
	v_add_f64_e32 v[6:7], v[14:15], v[6:7]
	v_fma_f64 v[14:15], v[50:51], s[6:7], v[188:189]
	s_delay_alu instid0(VALU_DEP_1) | instskip(SKIP_2) | instid1(VALU_DEP_1)
	v_add_f64_e32 v[6:7], v[14:15], v[6:7]
	v_fma_f64 v[14:15], v[72:73], s[4:5], -v[24:25]
	s_wait_loadcnt 0x0
	v_add_f64_e32 v[14:15], v[14:15], v[20:21]
	v_fma_f64 v[20:21], v[38:39], s[14:15], -v[176:177]
	s_delay_alu instid0(VALU_DEP_1) | instskip(SKIP_1) | instid1(VALU_DEP_1)
	v_add_f64_e32 v[14:15], v[20:21], v[14:15]
	v_fma_f64 v[20:21], v[18:19], s[22:23], -v[180:181]
	v_add_f64_e32 v[14:15], v[20:21], v[14:15]
	v_fma_f64 v[20:21], v[16:17], s[18:19], -v[184:185]
	s_delay_alu instid0(VALU_DEP_1) | instskip(SKIP_1) | instid1(VALU_DEP_1)
	v_add_f64_e32 v[14:15], v[20:21], v[14:15]
	v_fma_f64 v[20:21], v[40:41], s[6:7], -v[192:193]
	v_add_f64_e32 v[14:15], v[20:21], v[14:15]
	v_fma_f64 v[20:21], v[58:59], s[10:11], v[194:195]
	s_delay_alu instid0(VALU_DEP_1) | instskip(SKIP_1) | instid1(VALU_DEP_1)
	v_add_f64_e32 v[6:7], v[20:21], v[6:7]
	v_fma_f64 v[20:21], v[48:49], s[10:11], -v[196:197]
	v_add_f64_e32 v[14:15], v[20:21], v[14:15]
	v_fma_f64 v[20:21], v[84:85], s[20:21], v[198:199]
	s_delay_alu instid0(VALU_DEP_2)
	v_add_f64_e32 v[78:79], v[10:11], v[14:15]
	s_clause 0x1
	scratch_load_b64 v[10:11], off, off offset:112 th:TH_LOAD_LU
	scratch_load_b64 v[14:15], off, off offset:104 th:TH_LOAD_LU
	v_add_f64_e32 v[80:81], v[20:21], v[6:7]
	v_fma_f64 v[6:7], v[46:47], s[10:11], v[232:233]
	scratch_load_b64 v[20:21], off, off offset:72 th:TH_LOAD_LU ; 8-byte Folded Reload
	s_wait_loadcnt 0x2
	v_add_f64_e32 v[6:7], v[6:7], v[10:11]
	v_fma_f64 v[10:11], v[72:73], s[10:11], -v[127:128]
	s_wait_loadcnt 0x1
	s_delay_alu instid0(VALU_DEP_1) | instskip(SKIP_1) | instid1(VALU_DEP_1)
	v_add_f64_e32 v[10:11], v[10:11], v[14:15]
	v_fma_f64 v[14:15], v[44:45], s[4:5], v[234:235]
	v_add_f64_e32 v[6:7], v[14:15], v[6:7]
	v_fma_f64 v[14:15], v[38:39], s[4:5], -v[236:237]
	s_delay_alu instid0(VALU_DEP_1) | instskip(SKIP_1) | instid1(VALU_DEP_1)
	v_add_f64_e32 v[10:11], v[14:15], v[10:11]
	v_fma_f64 v[14:15], v[36:37], s[14:15], v[238:239]
	v_add_f64_e32 v[6:7], v[14:15], v[6:7]
	v_fma_f64 v[14:15], v[18:19], s[14:15], -v[240:241]
	;; [unrolled: 5-line block ×5, first 2 shown]
	s_delay_alu instid0(VALU_DEP_2) | instskip(NEXT) | instid1(VALU_DEP_2)
	v_add_f64_e32 v[88:89], v[0:1], v[6:7]
	v_add_f64_e32 v[10:11], v[14:15], v[10:11]
	v_fma_f64 v[14:15], v[56:57], s[6:7], -v[254:255]
	scratch_load_b64 v[6:7], off, off offset:96 th:TH_LOAD_LU ; 8-byte Folded Reload
	v_fma_f64 v[0:1], v[46:47], s[16:17], v[204:205]
	v_mov_b32_e32 v255, v161
	v_add_f64_e32 v[86:87], v[14:15], v[10:11]
	scratch_load_b64 v[10:11], off, off offset:88 th:TH_LOAD_LU ; 8-byte Folded Reload
	v_fma_f64 v[14:15], v[56:57], s[22:23], -v[230:231]
	s_wait_loadcnt 0x1
	v_add_f64_e32 v[0:1], v[0:1], v[6:7]
	v_fma_f64 v[6:7], v[72:73], s[16:17], -v[206:207]
	s_wait_loadcnt 0x0
	s_delay_alu instid0(VALU_DEP_1) | instskip(SKIP_1) | instid1(VALU_DEP_1)
	v_add_f64_e32 v[6:7], v[6:7], v[10:11]
	v_fma_f64 v[10:11], v[44:45], s[10:11], v[208:209]
	v_add_f64_e32 v[0:1], v[10:11], v[0:1]
	v_fma_f64 v[10:11], v[38:39], s[10:11], -v[210:211]
	s_delay_alu instid0(VALU_DEP_1) | instskip(SKIP_1) | instid1(VALU_DEP_1)
	v_add_f64_e32 v[6:7], v[10:11], v[6:7]
	v_fma_f64 v[10:11], v[36:37], s[4:5], v[212:213]
	v_add_f64_e32 v[0:1], v[10:11], v[0:1]
	v_fma_f64 v[10:11], v[18:19], s[4:5], -v[214:215]
	;; [unrolled: 5-line block ×5, first 2 shown]
	s_delay_alu instid0(VALU_DEP_1) | instskip(SKIP_1) | instid1(VALU_DEP_2)
	v_add_f64_e32 v[6:7], v[10:11], v[6:7]
	v_fma_f64 v[10:11], v[84:85], s[22:23], v[228:229]
	v_add_f64_e32 v[68:69], v[14:15], v[6:7]
	scratch_load_b64 v[14:15], off, off offset:80 th:TH_LOAD_LU ; 8-byte Folded Reload
	v_add_f64_e32 v[70:71], v[10:11], v[0:1]
	v_fma_f64 v[0:1], v[46:47], s[20:21], v[129:130]
	v_fma_f64 v[6:7], v[72:73], s[20:21], -v[125:126]
	v_fma_f64 v[10:11], v[44:45], s[18:19], v[64:65]
	s_delay_alu instid0(VALU_DEP_2)
	v_add_f64_e32 v[6:7], v[6:7], v[20:21]
	v_fma_f64 v[20:21], v[36:37], s[16:17], v[34:35]
	v_dual_mov_b32 v32, v151 :: v_dual_mov_b32 v33, v152
	v_dual_mov_b32 v34, v153 :: v_dual_mov_b32 v35, v154
	s_wait_loadcnt 0x0
	v_add_f64_e32 v[0:1], v[0:1], v[14:15]
	v_fma_f64 v[14:15], v[38:39], s[18:19], -v[26:27]
	s_delay_alu instid0(VALU_DEP_2) | instskip(SKIP_1) | instid1(VALU_DEP_3)
	v_add_f64_e32 v[0:1], v[10:11], v[0:1]
	v_fma_f64 v[10:11], v[18:19], s[16:17], -v[22:23]
	v_add_f64_e32 v[6:7], v[14:15], v[6:7]
	v_fma_f64 v[14:15], v[42:43], s[14:15], v[178:179]
	s_delay_alu instid0(VALU_DEP_4) | instskip(NEXT) | instid1(VALU_DEP_3)
	v_add_f64_e32 v[0:1], v[20:21], v[0:1]
	v_add_f64_e32 v[6:7], v[10:11], v[6:7]
	v_fma_f64 v[10:11], v[50:51], s[10:11], v[182:183]
	s_delay_alu instid0(VALU_DEP_3) | instskip(NEXT) | instid1(VALU_DEP_3)
	v_add_f64_e32 v[0:1], v[14:15], v[0:1]
	v_add_f64_e32 v[6:7], v[12:13], v[6:7]
	v_fma_f64 v[12:13], v[58:59], s[6:7], v[186:187]
	s_delay_alu instid0(VALU_DEP_3) | instskip(NEXT) | instid1(VALU_DEP_3)
	;; [unrolled: 4-line block ×3, first 2 shown]
	v_add_f64_e32 v[0:1], v[12:13], v[0:1]
	v_add_f64_e32 v[4:5], v[4:5], v[6:7]
	s_delay_alu instid0(VALU_DEP_2)
	v_add_f64_e32 v[18:19], v[8:9], v[0:1]
	scratch_load_b32 v1, off, off offset:4 th:TH_LOAD_LU ; 4-byte Folded Reload
	v_and_b32_e32 v0, 0xffff, v98
	v_mov_b32_e32 v98, v143
	v_add_f64_e32 v[16:17], v[2:3], v[4:5]
	s_wait_loadcnt 0x0
	s_delay_alu instid0(VALU_DEP_3)
	v_lshl_add_u32 v0, v0, 4, v1
	scratch_load_b128 v[1:4], off, off offset:24 th:TH_LOAD_LU ; 16-byte Folded Reload
	s_wait_loadcnt 0x0
	ds_store_b128 v0, v[1:4]
	ds_store_b128 v0, v[108:111] offset:16
	ds_store_b128 v0, v[112:115] offset:32
	ds_store_b128 v0, v[117:120] offset:48
	ds_store_b128 v0, v[121:124] offset:64
	ds_store_b128 v0, v[52:55] offset:80
	ds_store_b128 v0, v[60:63] offset:96
	ds_store_b128 v0, v[100:103] offset:112
	scratch_load_b128 v[1:4], off, off offset:56 th:TH_LOAD_LU ; 16-byte Folded Reload
	s_wait_loadcnt 0x0
	ds_store_b128 v0, v[1:4] offset:128
	scratch_load_b128 v[1:4], off, off offset:40 th:TH_LOAD_LU ; 16-byte Folded Reload
	s_wait_loadcnt 0x0
	ds_store_b128 v0, v[1:4] offset:144
	ds_store_b128 v0, v[155:158] offset:160
	;; [unrolled: 1-line block ×8, first 2 shown]
.LBB0_13:
	s_or_b32 exec_lo, exec_lo, s33
	global_wb scope:SCOPE_SE
	s_wait_storecnt_dscnt 0x0
	s_barrier_signal -1
	s_barrier_wait -1
	global_inv scope:SCOPE_SE
	ds_load_b128 v[0:3], v98 offset:272
	ds_load_b128 v[4:7], v98 offset:544
	ds_load_b128 v[8:11], v98 offset:816
	ds_load_b128 v[12:15], v98 offset:1088
	s_mov_b32 s4, 0x134454ff
	s_mov_b32 s5, 0xbfee6f0e
	;; [unrolled: 1-line block ×3, first 2 shown]
	s_wait_alu 0xfffe
	s_mov_b32 s6, s4
	s_wait_dscnt 0x3
	v_mul_f64_e32 v[16:17], v[173:174], v[2:3]
	s_wait_dscnt 0x2
	v_mul_f64_e32 v[18:19], v[34:35], v[6:7]
	;; [unrolled: 2-line block ×4, first 2 shown]
	v_mul_f64_e32 v[26:27], v[34:35], v[4:5]
	v_mul_f64_e32 v[28:29], v[202:203], v[8:9]
	;; [unrolled: 1-line block ×4, first 2 shown]
	v_fma_f64 v[16:17], v[171:172], v[0:1], v[16:17]
	v_fma_f64 v[4:5], v[32:33], v[4:5], v[18:19]
	;; [unrolled: 1-line block ×4, first 2 shown]
	v_fma_f64 v[6:7], v[32:33], v[6:7], -v[26:27]
	v_fma_f64 v[10:11], v[200:201], v[10:11], -v[28:29]
	;; [unrolled: 1-line block ×4, first 2 shown]
	ds_load_b128 v[0:3], v98
	s_wait_dscnt 0x0
	v_add_f64_e32 v[28:29], v[0:1], v[16:17]
	v_add_f64_e32 v[20:21], v[4:5], v[8:9]
	;; [unrolled: 1-line block ×3, first 2 shown]
	v_add_f64_e64 v[36:37], v[16:17], -v[12:13]
	v_add_f64_e32 v[24:25], v[6:7], v[10:11]
	v_add_f64_e32 v[34:35], v[2:3], v[18:19]
	v_add_f64_e32 v[26:27], v[18:19], v[14:15]
	v_add_f64_e64 v[30:31], v[18:19], -v[14:15]
	v_add_f64_e64 v[32:33], v[6:7], -v[10:11]
	v_add_f64_e64 v[42:43], v[18:19], -v[6:7]
	v_add_f64_e64 v[18:19], v[6:7], -v[18:19]
	v_add_f64_e64 v[38:39], v[12:13], -v[8:9]
	v_add_f64_e64 v[44:45], v[14:15], -v[10:11]
	v_add_f64_e64 v[40:41], v[8:9], -v[12:13]
	v_add_f64_e64 v[46:47], v[10:11], -v[14:15]
	v_fma_f64 v[20:21], v[20:21], -0.5, v[0:1]
	v_fma_f64 v[0:1], v[22:23], -0.5, v[0:1]
	v_add_f64_e64 v[22:23], v[4:5], -v[8:9]
	v_fma_f64 v[24:25], v[24:25], -0.5, v[2:3]
	v_add_f64_e32 v[6:7], v[34:35], v[6:7]
	v_fma_f64 v[2:3], v[26:27], -0.5, v[2:3]
	v_add_f64_e64 v[26:27], v[16:17], -v[4:5]
	v_add_f64_e64 v[16:17], v[4:5], -v[16:17]
	v_add_f64_e32 v[4:5], v[28:29], v[4:5]
	v_add_f64_e32 v[18:19], v[18:19], v[46:47]
	v_fma_f64 v[28:29], v[30:31], s[4:5], v[20:21]
	s_wait_alu 0xfffe
	v_fma_f64 v[20:21], v[30:31], s[6:7], v[20:21]
	v_fma_f64 v[34:35], v[32:33], s[6:7], v[0:1]
	v_fma_f64 v[0:1], v[32:33], s[4:5], v[0:1]
	v_fma_f64 v[48:49], v[36:37], s[6:7], v[24:25]
	v_fma_f64 v[50:51], v[22:23], s[4:5], v[2:3]
	v_fma_f64 v[2:3], v[22:23], s[6:7], v[2:3]
	v_fma_f64 v[24:25], v[36:37], s[4:5], v[24:25]
	s_mov_b32 s4, 0x4755a5e
	s_mov_b32 s5, 0xbfe2cf23
	;; [unrolled: 1-line block ×3, first 2 shown]
	s_wait_alu 0xfffe
	s_mov_b32 s6, s4
	v_add_f64_e32 v[4:5], v[4:5], v[8:9]
	v_add_f64_e32 v[6:7], v[6:7], v[10:11]
	;; [unrolled: 1-line block ×5, first 2 shown]
	v_fma_f64 v[8:9], v[32:33], s[4:5], v[28:29]
	s_wait_alu 0xfffe
	v_fma_f64 v[10:11], v[32:33], s[6:7], v[20:21]
	v_fma_f64 v[20:21], v[30:31], s[4:5], v[34:35]
	;; [unrolled: 1-line block ×7, first 2 shown]
	s_mov_b32 s4, 0x372fe950
	s_mov_b32 s5, 0x3fd3c6ef
	v_add_f64_e32 v[0:1], v[4:5], v[12:13]
	v_add_f64_e32 v[2:3], v[6:7], v[14:15]
	s_wait_alu 0xfffe
	v_fma_f64 v[4:5], v[26:27], s[4:5], v[8:9]
	v_fma_f64 v[8:9], v[26:27], s[4:5], v[10:11]
	;; [unrolled: 1-line block ×8, first 2 shown]
	s_and_b32 s4, exec_lo, vcc_lo
	ds_store_b128 v99, v[0:3]
	ds_store_b128 v99, v[4:7] offset:272
	ds_store_b128 v99, v[12:15] offset:544
	;; [unrolled: 1-line block ×4, first 2 shown]
	global_wb scope:SCOPE_SE
	s_wait_dscnt 0x0
	s_barrier_signal -1
	s_barrier_wait -1
	global_inv scope:SCOPE_SE
	scratch_load_b64 v[15:16], off, off offset:8 ; 8-byte Folded Reload
	s_wait_alu 0xfffe
	s_mov_b32 exec_lo, s4
	s_cbranch_execz .LBB0_15
; %bb.14:
	scratch_load_b32 v0, off, off th:TH_LOAD_LU ; 4-byte Folded Reload
	global_load_b128 v[3:6], v116, s[8:9]
	ds_load_b128 v[7:10], v99
	s_mov_b32 s4, 0x18181818
	s_mov_b32 s5, 0x3f881818
	s_wait_loadcnt 0x1
	v_lshl_add_u32 v2, v0, 4, v116
	ds_load_b128 v[11:14], v2 offset:80
	s_wait_loadcnt_dscnt 0x1
	v_mul_f64_e32 v[0:1], v[9:10], v[5:6]
	v_mul_f64_e32 v[5:6], v[7:8], v[5:6]
	s_delay_alu instid0(VALU_DEP_2) | instskip(NEXT) | instid1(VALU_DEP_2)
	v_fma_f64 v[0:1], v[7:8], v[3:4], v[0:1]
	v_fma_f64 v[5:6], v[3:4], v[9:10], -v[5:6]
	v_mad_co_u64_u32 v[7:8], null, s2, v15, 0
	v_mad_co_u64_u32 v[9:10], null, s0, v162, 0
	s_wait_alu 0xfffe
	s_delay_alu instid0(VALU_DEP_4) | instskip(NEXT) | instid1(VALU_DEP_4)
	v_mul_f64_e32 v[3:4], s[4:5], v[0:1]
	v_mul_f64_e32 v[5:6], s[4:5], v[5:6]
	s_delay_alu instid0(VALU_DEP_3) | instskip(NEXT) | instid1(VALU_DEP_1)
	v_dual_mov_b32 v0, v8 :: v_dual_mov_b32 v1, v10
	v_mad_co_u64_u32 v[15:16], null, s3, v15, v[0:1]
	v_mad_co_u64_u32 v[0:1], null, s1, v162, v[1:2]
	s_mul_u64 s[2:3], s[0:1], 0x50
	s_delay_alu instid0(VALU_DEP_2) | instskip(NEXT) | instid1(VALU_DEP_2)
	v_mov_b32_e32 v8, v15
	v_mov_b32_e32 v10, v0
	s_delay_alu instid0(VALU_DEP_2) | instskip(NEXT) | instid1(VALU_DEP_2)
	v_lshlrev_b64_e32 v[0:1], 4, v[7:8]
	v_lshlrev_b64_e32 v[7:8], 4, v[9:10]
	s_delay_alu instid0(VALU_DEP_2) | instskip(NEXT) | instid1(VALU_DEP_3)
	v_add_co_u32 v0, vcc_lo, s12, v0
	v_add_co_ci_u32_e32 v1, vcc_lo, s13, v1, vcc_lo
	s_delay_alu instid0(VALU_DEP_2) | instskip(SKIP_1) | instid1(VALU_DEP_2)
	v_add_co_u32 v7, vcc_lo, v0, v7
	s_wait_alu 0xfffd
	v_add_co_ci_u32_e32 v8, vcc_lo, v1, v8, vcc_lo
	s_wait_alu 0xfffe
	s_delay_alu instid0(VALU_DEP_2)
	v_add_co_u32 v15, vcc_lo, v7, s2
	global_store_b128 v[7:8], v[3:6], off
	global_load_b128 v[3:6], v116, s[8:9] offset:80
	s_wait_alu 0xfffd
	v_add_co_ci_u32_e32 v16, vcc_lo, s3, v8, vcc_lo
	s_wait_loadcnt_dscnt 0x0
	v_mul_f64_e32 v[9:10], v[13:14], v[5:6]
	v_mul_f64_e32 v[5:6], v[11:12], v[5:6]
	s_delay_alu instid0(VALU_DEP_2) | instskip(NEXT) | instid1(VALU_DEP_2)
	v_fma_f64 v[9:10], v[11:12], v[3:4], v[9:10]
	v_fma_f64 v[5:6], v[3:4], v[13:14], -v[5:6]
	s_delay_alu instid0(VALU_DEP_2) | instskip(NEXT) | instid1(VALU_DEP_2)
	v_mul_f64_e32 v[3:4], s[4:5], v[9:10]
	v_mul_f64_e32 v[5:6], s[4:5], v[5:6]
	global_store_b128 v[15:16], v[3:6], off
	global_load_b128 v[3:6], v116, s[8:9] offset:160
	ds_load_b128 v[7:10], v2 offset:160
	ds_load_b128 v[11:14], v2 offset:240
	s_wait_loadcnt_dscnt 0x1
	v_mul_f64_e32 v[17:18], v[9:10], v[5:6]
	v_mul_f64_e32 v[5:6], v[7:8], v[5:6]
	s_delay_alu instid0(VALU_DEP_2) | instskip(NEXT) | instid1(VALU_DEP_2)
	v_fma_f64 v[7:8], v[7:8], v[3:4], v[17:18]
	v_fma_f64 v[5:6], v[3:4], v[9:10], -v[5:6]
	s_delay_alu instid0(VALU_DEP_2) | instskip(NEXT) | instid1(VALU_DEP_2)
	v_mul_f64_e32 v[3:4], s[4:5], v[7:8]
	v_mul_f64_e32 v[5:6], s[4:5], v[5:6]
	v_add_co_u32 v7, vcc_lo, v15, s2
	s_wait_alu 0xfffd
	v_add_co_ci_u32_e32 v8, vcc_lo, s3, v16, vcc_lo
	s_delay_alu instid0(VALU_DEP_2) | instskip(SKIP_1) | instid1(VALU_DEP_2)
	v_add_co_u32 v15, vcc_lo, v7, s2
	s_wait_alu 0xfffd
	v_add_co_ci_u32_e32 v16, vcc_lo, s3, v8, vcc_lo
	global_store_b128 v[7:8], v[3:6], off
	global_load_b128 v[3:6], v116, s[8:9] offset:240
	s_wait_loadcnt_dscnt 0x0
	v_mul_f64_e32 v[9:10], v[13:14], v[5:6]
	v_mul_f64_e32 v[5:6], v[11:12], v[5:6]
	s_delay_alu instid0(VALU_DEP_2) | instskip(NEXT) | instid1(VALU_DEP_2)
	v_fma_f64 v[9:10], v[11:12], v[3:4], v[9:10]
	v_fma_f64 v[5:6], v[3:4], v[13:14], -v[5:6]
	s_delay_alu instid0(VALU_DEP_2) | instskip(NEXT) | instid1(VALU_DEP_2)
	v_mul_f64_e32 v[3:4], s[4:5], v[9:10]
	v_mul_f64_e32 v[5:6], s[4:5], v[5:6]
	global_store_b128 v[15:16], v[3:6], off
	global_load_b128 v[3:6], v116, s[8:9] offset:320
	ds_load_b128 v[7:10], v2 offset:320
	ds_load_b128 v[11:14], v2 offset:400
	s_wait_loadcnt_dscnt 0x1
	v_mul_f64_e32 v[17:18], v[9:10], v[5:6]
	v_mul_f64_e32 v[5:6], v[7:8], v[5:6]
	s_delay_alu instid0(VALU_DEP_2) | instskip(NEXT) | instid1(VALU_DEP_2)
	v_fma_f64 v[7:8], v[7:8], v[3:4], v[17:18]
	v_fma_f64 v[5:6], v[3:4], v[9:10], -v[5:6]
	s_delay_alu instid0(VALU_DEP_2) | instskip(NEXT) | instid1(VALU_DEP_2)
	v_mul_f64_e32 v[3:4], s[4:5], v[7:8]
	v_mul_f64_e32 v[5:6], s[4:5], v[5:6]
	v_add_co_u32 v7, vcc_lo, v15, s2
	s_wait_alu 0xfffd
	v_add_co_ci_u32_e32 v8, vcc_lo, s3, v16, vcc_lo
	s_delay_alu instid0(VALU_DEP_2) | instskip(SKIP_1) | instid1(VALU_DEP_2)
	v_add_co_u32 v15, vcc_lo, v7, s2
	s_wait_alu 0xfffd
	v_add_co_ci_u32_e32 v16, vcc_lo, s3, v8, vcc_lo
	global_store_b128 v[7:8], v[3:6], off
	global_load_b128 v[3:6], v116, s[8:9] offset:400
	s_wait_loadcnt_dscnt 0x0
	v_mul_f64_e32 v[9:10], v[13:14], v[5:6]
	v_mul_f64_e32 v[5:6], v[11:12], v[5:6]
	s_delay_alu instid0(VALU_DEP_2) | instskip(NEXT) | instid1(VALU_DEP_2)
	v_fma_f64 v[9:10], v[11:12], v[3:4], v[9:10]
	v_fma_f64 v[5:6], v[3:4], v[13:14], -v[5:6]
	s_delay_alu instid0(VALU_DEP_2) | instskip(NEXT) | instid1(VALU_DEP_2)
	v_mul_f64_e32 v[3:4], s[4:5], v[9:10]
	v_mul_f64_e32 v[5:6], s[4:5], v[5:6]
	global_store_b128 v[15:16], v[3:6], off
	global_load_b128 v[3:6], v116, s[8:9] offset:480
	ds_load_b128 v[7:10], v2 offset:480
	ds_load_b128 v[11:14], v2 offset:560
	s_wait_loadcnt_dscnt 0x1
	v_mul_f64_e32 v[17:18], v[9:10], v[5:6]
	v_mul_f64_e32 v[5:6], v[7:8], v[5:6]
	s_delay_alu instid0(VALU_DEP_2) | instskip(NEXT) | instid1(VALU_DEP_2)
	v_fma_f64 v[7:8], v[7:8], v[3:4], v[17:18]
	v_fma_f64 v[5:6], v[3:4], v[9:10], -v[5:6]
	s_delay_alu instid0(VALU_DEP_2) | instskip(NEXT) | instid1(VALU_DEP_2)
	v_mul_f64_e32 v[3:4], s[4:5], v[7:8]
	v_mul_f64_e32 v[5:6], s[4:5], v[5:6]
	v_add_co_u32 v7, vcc_lo, v15, s2
	s_wait_alu 0xfffd
	v_add_co_ci_u32_e32 v8, vcc_lo, s3, v16, vcc_lo
	s_delay_alu instid0(VALU_DEP_2) | instskip(SKIP_1) | instid1(VALU_DEP_2)
	v_add_co_u32 v15, vcc_lo, v7, s2
	s_wait_alu 0xfffd
	v_add_co_ci_u32_e32 v16, vcc_lo, s3, v8, vcc_lo
	global_store_b128 v[7:8], v[3:6], off
	global_load_b128 v[3:6], v116, s[8:9] offset:560
	s_wait_loadcnt_dscnt 0x0
	v_mul_f64_e32 v[9:10], v[13:14], v[5:6]
	v_mul_f64_e32 v[5:6], v[11:12], v[5:6]
	s_delay_alu instid0(VALU_DEP_2) | instskip(NEXT) | instid1(VALU_DEP_2)
	v_fma_f64 v[9:10], v[11:12], v[3:4], v[9:10]
	v_fma_f64 v[5:6], v[3:4], v[13:14], -v[5:6]
	s_delay_alu instid0(VALU_DEP_2) | instskip(NEXT) | instid1(VALU_DEP_2)
	v_mul_f64_e32 v[3:4], s[4:5], v[9:10]
	v_mul_f64_e32 v[5:6], s[4:5], v[5:6]
	global_store_b128 v[15:16], v[3:6], off
	global_load_b128 v[3:6], v116, s[8:9] offset:640
	ds_load_b128 v[7:10], v2 offset:640
	ds_load_b128 v[11:14], v2 offset:720
	v_mad_co_u64_u32 v[15:16], null, 0xa0, s0, v[15:16]
	s_wait_loadcnt_dscnt 0x1
	v_mul_f64_e32 v[17:18], v[9:10], v[5:6]
	v_mul_f64_e32 v[5:6], v[7:8], v[5:6]
	s_delay_alu instid0(VALU_DEP_2) | instskip(SKIP_3) | instid1(VALU_DEP_2)
	v_fma_f64 v[7:8], v[7:8], v[3:4], v[17:18]
	scratch_load_b32 v17, off, off offset:20 th:TH_LOAD_LU ; 4-byte Folded Reload
	v_fma_f64 v[5:6], v[3:4], v[9:10], -v[5:6]
	v_mul_f64_e32 v[3:4], s[4:5], v[7:8]
	v_mul_f64_e32 v[5:6], s[4:5], v[5:6]
	s_wait_loadcnt 0x0
	v_mad_co_u64_u32 v[9:10], null, s0, v17, 0
	s_delay_alu instid0(VALU_DEP_1) | instskip(NEXT) | instid1(VALU_DEP_1)
	v_mov_b32_e32 v7, v10
	v_mad_co_u64_u32 v[7:8], null, s1, v17, v[7:8]
	s_delay_alu instid0(VALU_DEP_1) | instskip(NEXT) | instid1(VALU_DEP_1)
	v_mov_b32_e32 v10, v7
	v_lshlrev_b64_e32 v[7:8], 4, v[9:10]
	s_delay_alu instid0(VALU_DEP_1) | instskip(SKIP_1) | instid1(VALU_DEP_2)
	v_add_co_u32 v7, vcc_lo, v0, v7
	s_wait_alu 0xfffd
	v_add_co_ci_u32_e32 v8, vcc_lo, v1, v8, vcc_lo
	global_store_b128 v[7:8], v[3:6], off
	global_load_b128 v[3:6], v116, s[8:9] offset:720
	s_wait_loadcnt_dscnt 0x0
	v_mul_f64_e32 v[7:8], v[13:14], v[5:6]
	v_mul_f64_e32 v[5:6], v[11:12], v[5:6]
	s_delay_alu instid0(VALU_DEP_2) | instskip(NEXT) | instid1(VALU_DEP_2)
	v_fma_f64 v[7:8], v[11:12], v[3:4], v[7:8]
	v_fma_f64 v[5:6], v[3:4], v[13:14], -v[5:6]
	s_delay_alu instid0(VALU_DEP_2) | instskip(SKIP_1) | instid1(VALU_DEP_3)
	v_mul_f64_e32 v[3:4], s[4:5], v[7:8]
	v_mov_b32_e32 v7, v16
	v_mul_f64_e32 v[5:6], s[4:5], v[5:6]
	s_delay_alu instid0(VALU_DEP_2) | instskip(NEXT) | instid1(VALU_DEP_1)
	v_mad_co_u64_u32 v[7:8], null, 0xa0, s1, v[7:8]
	v_mov_b32_e32 v16, v7
	global_store_b128 v[15:16], v[3:6], off
	global_load_b128 v[3:6], v116, s[8:9] offset:800
	ds_load_b128 v[7:10], v2 offset:800
	ds_load_b128 v[11:14], v2 offset:880
	s_wait_loadcnt_dscnt 0x1
	v_mul_f64_e32 v[17:18], v[9:10], v[5:6]
	v_mul_f64_e32 v[5:6], v[7:8], v[5:6]
	s_delay_alu instid0(VALU_DEP_2) | instskip(NEXT) | instid1(VALU_DEP_2)
	v_fma_f64 v[7:8], v[7:8], v[3:4], v[17:18]
	v_fma_f64 v[5:6], v[3:4], v[9:10], -v[5:6]
	s_delay_alu instid0(VALU_DEP_2) | instskip(NEXT) | instid1(VALU_DEP_2)
	v_mul_f64_e32 v[3:4], s[4:5], v[7:8]
	v_mul_f64_e32 v[5:6], s[4:5], v[5:6]
	v_add_co_u32 v7, vcc_lo, v15, s2
	s_wait_alu 0xfffd
	v_add_co_ci_u32_e32 v8, vcc_lo, s3, v16, vcc_lo
	s_delay_alu instid0(VALU_DEP_2) | instskip(SKIP_1) | instid1(VALU_DEP_2)
	v_add_co_u32 v15, vcc_lo, v7, s2
	s_wait_alu 0xfffd
	v_add_co_ci_u32_e32 v16, vcc_lo, s3, v8, vcc_lo
	global_store_b128 v[7:8], v[3:6], off
	global_load_b128 v[3:6], v116, s[8:9] offset:880
	s_wait_loadcnt_dscnt 0x0
	v_mul_f64_e32 v[9:10], v[13:14], v[5:6]
	v_mul_f64_e32 v[5:6], v[11:12], v[5:6]
	s_delay_alu instid0(VALU_DEP_2) | instskip(NEXT) | instid1(VALU_DEP_2)
	v_fma_f64 v[9:10], v[11:12], v[3:4], v[9:10]
	v_fma_f64 v[5:6], v[3:4], v[13:14], -v[5:6]
	s_delay_alu instid0(VALU_DEP_2) | instskip(NEXT) | instid1(VALU_DEP_2)
	v_mul_f64_e32 v[3:4], s[4:5], v[9:10]
	v_mul_f64_e32 v[5:6], s[4:5], v[5:6]
	global_store_b128 v[15:16], v[3:6], off
	global_load_b128 v[3:6], v116, s[8:9] offset:960
	ds_load_b128 v[7:10], v2 offset:960
	ds_load_b128 v[11:14], v2 offset:1040
	s_wait_loadcnt_dscnt 0x1
	v_mul_f64_e32 v[17:18], v[9:10], v[5:6]
	v_mul_f64_e32 v[5:6], v[7:8], v[5:6]
	s_delay_alu instid0(VALU_DEP_2) | instskip(NEXT) | instid1(VALU_DEP_2)
	v_fma_f64 v[7:8], v[7:8], v[3:4], v[17:18]
	v_fma_f64 v[5:6], v[3:4], v[9:10], -v[5:6]
	s_delay_alu instid0(VALU_DEP_2) | instskip(NEXT) | instid1(VALU_DEP_2)
	v_mul_f64_e32 v[3:4], s[4:5], v[7:8]
	v_mul_f64_e32 v[5:6], s[4:5], v[5:6]
	v_add_co_u32 v7, vcc_lo, v15, s2
	s_wait_alu 0xfffd
	v_add_co_ci_u32_e32 v8, vcc_lo, s3, v16, vcc_lo
	s_delay_alu instid0(VALU_DEP_2) | instskip(SKIP_1) | instid1(VALU_DEP_2)
	v_add_co_u32 v15, vcc_lo, v7, s2
	s_wait_alu 0xfffd
	v_add_co_ci_u32_e32 v16, vcc_lo, s3, v8, vcc_lo
	global_store_b128 v[7:8], v[3:6], off
	global_load_b128 v[3:6], v116, s[8:9] offset:1040
	s_wait_loadcnt_dscnt 0x0
	v_mul_f64_e32 v[9:10], v[13:14], v[5:6]
	v_mul_f64_e32 v[5:6], v[11:12], v[5:6]
	s_delay_alu instid0(VALU_DEP_2) | instskip(NEXT) | instid1(VALU_DEP_2)
	v_fma_f64 v[9:10], v[11:12], v[3:4], v[9:10]
	v_fma_f64 v[5:6], v[3:4], v[13:14], -v[5:6]
	s_delay_alu instid0(VALU_DEP_2) | instskip(NEXT) | instid1(VALU_DEP_2)
	v_mul_f64_e32 v[3:4], s[4:5], v[9:10]
	v_mul_f64_e32 v[5:6], s[4:5], v[5:6]
	global_store_b128 v[15:16], v[3:6], off
	global_load_b128 v[3:6], v116, s[8:9] offset:1120
	ds_load_b128 v[7:10], v2 offset:1120
	ds_load_b128 v[11:14], v2 offset:1200
	s_wait_loadcnt_dscnt 0x1
	v_mul_f64_e32 v[17:18], v[9:10], v[5:6]
	v_mul_f64_e32 v[5:6], v[7:8], v[5:6]
	s_delay_alu instid0(VALU_DEP_2) | instskip(NEXT) | instid1(VALU_DEP_2)
	v_fma_f64 v[7:8], v[7:8], v[3:4], v[17:18]
	v_fma_f64 v[5:6], v[3:4], v[9:10], -v[5:6]
	s_delay_alu instid0(VALU_DEP_2) | instskip(NEXT) | instid1(VALU_DEP_2)
	v_mul_f64_e32 v[3:4], s[4:5], v[7:8]
	v_mul_f64_e32 v[5:6], s[4:5], v[5:6]
	v_add_co_u32 v7, vcc_lo, v15, s2
	s_wait_alu 0xfffd
	v_add_co_ci_u32_e32 v8, vcc_lo, s3, v16, vcc_lo
	global_store_b128 v[7:8], v[3:6], off
	global_load_b128 v[3:6], v116, s[8:9] offset:1200
	v_add_co_u32 v7, vcc_lo, v7, s2
	s_wait_alu 0xfffd
	v_add_co_ci_u32_e32 v8, vcc_lo, s3, v8, vcc_lo
	s_wait_loadcnt_dscnt 0x0
	v_mul_f64_e32 v[9:10], v[13:14], v[5:6]
	v_mul_f64_e32 v[5:6], v[11:12], v[5:6]
	s_delay_alu instid0(VALU_DEP_2) | instskip(NEXT) | instid1(VALU_DEP_2)
	v_fma_f64 v[9:10], v[11:12], v[3:4], v[9:10]
	v_fma_f64 v[5:6], v[3:4], v[13:14], -v[5:6]
	s_delay_alu instid0(VALU_DEP_2) | instskip(NEXT) | instid1(VALU_DEP_2)
	v_mul_f64_e32 v[3:4], s[4:5], v[9:10]
	v_mul_f64_e32 v[5:6], s[4:5], v[5:6]
	global_store_b128 v[7:8], v[3:6], off
	global_load_b128 v[3:6], v116, s[8:9] offset:1280
	ds_load_b128 v[7:10], v2 offset:1280
	s_wait_loadcnt_dscnt 0x0
	v_mul_f64_e32 v[11:12], v[9:10], v[5:6]
	v_mul_f64_e32 v[5:6], v[7:8], v[5:6]
	s_delay_alu instid0(VALU_DEP_2) | instskip(NEXT) | instid1(VALU_DEP_2)
	v_fma_f64 v[7:8], v[7:8], v[3:4], v[11:12]
	v_fma_f64 v[4:5], v[3:4], v[9:10], -v[5:6]
	v_mad_co_u64_u32 v[9:10], null, s0, v255, 0
	s_delay_alu instid0(VALU_DEP_1) | instskip(NEXT) | instid1(VALU_DEP_4)
	v_mov_b32_e32 v6, v10
	v_mul_f64_e32 v[2:3], s[4:5], v[7:8]
	s_delay_alu instid0(VALU_DEP_4) | instskip(NEXT) | instid1(VALU_DEP_3)
	v_mul_f64_e32 v[4:5], s[4:5], v[4:5]
	v_mad_co_u64_u32 v[6:7], null, s1, v255, v[6:7]
	s_delay_alu instid0(VALU_DEP_1) | instskip(NEXT) | instid1(VALU_DEP_1)
	v_mov_b32_e32 v10, v6
	v_lshlrev_b64_e32 v[6:7], 4, v[9:10]
	s_delay_alu instid0(VALU_DEP_1) | instskip(SKIP_1) | instid1(VALU_DEP_2)
	v_add_co_u32 v0, vcc_lo, v0, v6
	s_wait_alu 0xfffd
	v_add_co_ci_u32_e32 v1, vcc_lo, v1, v7, vcc_lo
	global_store_b128 v[0:1], v[2:5], off
.LBB0_15:
	s_nop 0
	s_sendmsg sendmsg(MSG_DEALLOC_VGPRS)
	s_endpgm
	.section	.rodata,"a",@progbits
	.p2align	6, 0x0
	.amdhsa_kernel bluestein_single_fwd_len85_dim1_dp_op_CI_CI
		.amdhsa_group_segment_fixed_size 20400
		.amdhsa_private_segment_fixed_size 356
		.amdhsa_kernarg_size 104
		.amdhsa_user_sgpr_count 2
		.amdhsa_user_sgpr_dispatch_ptr 0
		.amdhsa_user_sgpr_queue_ptr 0
		.amdhsa_user_sgpr_kernarg_segment_ptr 1
		.amdhsa_user_sgpr_dispatch_id 0
		.amdhsa_user_sgpr_private_segment_size 0
		.amdhsa_wavefront_size32 1
		.amdhsa_uses_dynamic_stack 0
		.amdhsa_enable_private_segment 1
		.amdhsa_system_sgpr_workgroup_id_x 1
		.amdhsa_system_sgpr_workgroup_id_y 0
		.amdhsa_system_sgpr_workgroup_id_z 0
		.amdhsa_system_sgpr_workgroup_info 0
		.amdhsa_system_vgpr_workitem_id 0
		.amdhsa_next_free_vgpr 256
		.amdhsa_next_free_sgpr 54
		.amdhsa_reserve_vcc 1
		.amdhsa_float_round_mode_32 0
		.amdhsa_float_round_mode_16_64 0
		.amdhsa_float_denorm_mode_32 3
		.amdhsa_float_denorm_mode_16_64 3
		.amdhsa_fp16_overflow 0
		.amdhsa_workgroup_processor_mode 1
		.amdhsa_memory_ordered 1
		.amdhsa_forward_progress 0
		.amdhsa_round_robin_scheduling 0
		.amdhsa_exception_fp_ieee_invalid_op 0
		.amdhsa_exception_fp_denorm_src 0
		.amdhsa_exception_fp_ieee_div_zero 0
		.amdhsa_exception_fp_ieee_overflow 0
		.amdhsa_exception_fp_ieee_underflow 0
		.amdhsa_exception_fp_ieee_inexact 0
		.amdhsa_exception_int_div_zero 0
	.end_amdhsa_kernel
	.text
.Lfunc_end0:
	.size	bluestein_single_fwd_len85_dim1_dp_op_CI_CI, .Lfunc_end0-bluestein_single_fwd_len85_dim1_dp_op_CI_CI
                                        ; -- End function
	.section	.AMDGPU.csdata,"",@progbits
; Kernel info:
; codeLenInByte = 18640
; NumSgprs: 56
; NumVgprs: 256
; ScratchSize: 356
; MemoryBound: 0
; FloatMode: 240
; IeeeMode: 1
; LDSByteSize: 20400 bytes/workgroup (compile time only)
; SGPRBlocks: 6
; VGPRBlocks: 31
; NumSGPRsForWavesPerEU: 56
; NumVGPRsForWavesPerEU: 256
; Occupancy: 5
; WaveLimiterHint : 1
; COMPUTE_PGM_RSRC2:SCRATCH_EN: 1
; COMPUTE_PGM_RSRC2:USER_SGPR: 2
; COMPUTE_PGM_RSRC2:TRAP_HANDLER: 0
; COMPUTE_PGM_RSRC2:TGID_X_EN: 1
; COMPUTE_PGM_RSRC2:TGID_Y_EN: 0
; COMPUTE_PGM_RSRC2:TGID_Z_EN: 0
; COMPUTE_PGM_RSRC2:TIDIG_COMP_CNT: 0
	.text
	.p2alignl 7, 3214868480
	.fill 96, 4, 3214868480
	.type	__hip_cuid_44b0b1e895ea3bd5,@object ; @__hip_cuid_44b0b1e895ea3bd5
	.section	.bss,"aw",@nobits
	.globl	__hip_cuid_44b0b1e895ea3bd5
__hip_cuid_44b0b1e895ea3bd5:
	.byte	0                               ; 0x0
	.size	__hip_cuid_44b0b1e895ea3bd5, 1

	.ident	"AMD clang version 19.0.0git (https://github.com/RadeonOpenCompute/llvm-project roc-6.4.0 25133 c7fe45cf4b819c5991fe208aaa96edf142730f1d)"
	.section	".note.GNU-stack","",@progbits
	.addrsig
	.addrsig_sym __hip_cuid_44b0b1e895ea3bd5
	.amdgpu_metadata
---
amdhsa.kernels:
  - .args:
      - .actual_access:  read_only
        .address_space:  global
        .offset:         0
        .size:           8
        .value_kind:     global_buffer
      - .actual_access:  read_only
        .address_space:  global
        .offset:         8
        .size:           8
        .value_kind:     global_buffer
      - .actual_access:  read_only
        .address_space:  global
        .offset:         16
        .size:           8
        .value_kind:     global_buffer
      - .actual_access:  read_only
        .address_space:  global
        .offset:         24
        .size:           8
        .value_kind:     global_buffer
      - .actual_access:  read_only
        .address_space:  global
        .offset:         32
        .size:           8
        .value_kind:     global_buffer
      - .offset:         40
        .size:           8
        .value_kind:     by_value
      - .address_space:  global
        .offset:         48
        .size:           8
        .value_kind:     global_buffer
      - .address_space:  global
        .offset:         56
        .size:           8
        .value_kind:     global_buffer
      - .address_space:  global
        .offset:         64
        .size:           8
        .value_kind:     global_buffer
      - .address_space:  global
        .offset:         72
        .size:           8
        .value_kind:     global_buffer
      - .offset:         80
        .size:           4
        .value_kind:     by_value
      - .address_space:  global
        .offset:         88
        .size:           8
        .value_kind:     global_buffer
      - .address_space:  global
        .offset:         96
        .size:           8
        .value_kind:     global_buffer
    .group_segment_fixed_size: 20400
    .kernarg_segment_align: 8
    .kernarg_segment_size: 104
    .language:       OpenCL C
    .language_version:
      - 2
      - 0
    .max_flat_workgroup_size: 255
    .name:           bluestein_single_fwd_len85_dim1_dp_op_CI_CI
    .private_segment_fixed_size: 356
    .sgpr_count:     56
    .sgpr_spill_count: 0
    .symbol:         bluestein_single_fwd_len85_dim1_dp_op_CI_CI.kd
    .uniform_work_group_size: 1
    .uses_dynamic_stack: false
    .vgpr_count:     256
    .vgpr_spill_count: 116
    .wavefront_size: 32
    .workgroup_processor_mode: 1
amdhsa.target:   amdgcn-amd-amdhsa--gfx1201
amdhsa.version:
  - 1
  - 2
...

	.end_amdgpu_metadata
